;; amdgpu-corpus repo=ROCm/rocFFT kind=compiled arch=gfx906 opt=O3
	.text
	.amdgcn_target "amdgcn-amd-amdhsa--gfx906"
	.amdhsa_code_object_version 6
	.protected	bluestein_single_fwd_len340_dim1_sp_op_CI_CI ; -- Begin function bluestein_single_fwd_len340_dim1_sp_op_CI_CI
	.globl	bluestein_single_fwd_len340_dim1_sp_op_CI_CI
	.p2align	8
	.type	bluestein_single_fwd_len340_dim1_sp_op_CI_CI,@function
bluestein_single_fwd_len340_dim1_sp_op_CI_CI: ; @bluestein_single_fwd_len340_dim1_sp_op_CI_CI
; %bb.0:
	v_mul_u32_u24_e32 v1, 0x788, v0
	s_load_dwordx4 s[0:3], s[4:5], 0x28
	v_lshrrev_b32_e32 v1, 16, v1
	v_mad_u64_u32 v[40:41], s[6:7], s6, 3, v[1:2]
	v_mov_b32_e32 v41, 0
	s_waitcnt lgkmcnt(0)
	v_cmp_gt_u64_e32 vcc, s[0:1], v[40:41]
	s_and_saveexec_b64 s[0:1], vcc
	s_cbranch_execz .LBB0_15
; %bb.1:
	s_mov_b32 s0, 0xaaaaaaab
	v_mul_hi_u32 v2, v40, s0
	v_mul_lo_u16_e32 v1, 34, v1
	s_load_dwordx2 s[12:13], s[4:5], 0x0
	s_load_dwordx2 s[14:15], s[4:5], 0x38
	v_sub_u16_e32 v75, v0, v1
	v_lshrrev_b32_e32 v0, 1, v2
	v_lshl_add_u32 v0, v0, 1, v0
	v_sub_u32_e32 v0, v40, v0
	v_mul_u32_u24_e32 v59, 0x154, v0
	v_cmp_gt_u16_e32 vcc, 20, v75
	v_lshlrev_b32_e32 v76, 3, v75
	v_lshlrev_b32_e32 v77, 3, v59
	s_and_saveexec_b64 s[6:7], vcc
	s_cbranch_execz .LBB0_3
; %bb.2:
	s_load_dwordx2 s[0:1], s[4:5], 0x18
	v_or_b32_e32 v30, 0xa0, v75
	v_mov_b32_e32 v36, 0x140
	v_or_b32_e32 v64, 0x140, v75
	v_add_u32_e32 v73, v77, v76
	s_waitcnt lgkmcnt(0)
	s_load_dwordx4 s[8:11], s[0:1], 0x0
	s_waitcnt lgkmcnt(0)
	v_mad_u64_u32 v[0:1], s[0:1], s10, v40, 0
	v_mad_u64_u32 v[2:3], s[0:1], s8, v75, 0
	;; [unrolled: 1-line block ×4, first 2 shown]
	v_mov_b32_e32 v1, v4
	v_lshlrev_b64 v[0:1], 3, v[0:1]
	v_mov_b32_e32 v3, v5
	v_mov_b32_e32 v6, s3
	v_lshlrev_b64 v[2:3], 3, v[2:3]
	v_add_co_u32_e64 v71, s[0:1], s2, v0
	v_addc_co_u32_e64 v72, s[0:1], v6, v1, s[0:1]
	v_add_co_u32_e64 v0, s[0:1], v71, v2
	v_addc_co_u32_e64 v1, s[0:1], v72, v3, s[0:1]
	s_mul_i32 s0, s9, 0xa0
	s_mul_hi_u32 s3, s8, 0xa0
	s_add_i32 s3, s3, s0
	s_mul_i32 s2, s8, 0xa0
	v_mov_b32_e32 v3, s3
	v_add_co_u32_e64 v2, s[0:1], s2, v0
	v_addc_co_u32_e64 v3, s[0:1], v1, v3, s[0:1]
	v_mov_b32_e32 v5, s3
	v_add_co_u32_e64 v4, s[0:1], s2, v2
	v_addc_co_u32_e64 v5, s[0:1], v3, v5, s[0:1]
	;; [unrolled: 3-line block ×3, first 2 shown]
	global_load_dwordx2 v[8:9], v[0:1], off
	global_load_dwordx2 v[10:11], v[2:3], off
	global_load_dwordx2 v[12:13], v[4:5], off
	global_load_dwordx2 v[14:15], v[6:7], off
	global_load_dwordx2 v[16:17], v76, s[12:13]
	global_load_dwordx2 v[18:19], v76, s[12:13] offset:160
	global_load_dwordx2 v[20:21], v76, s[12:13] offset:320
	;; [unrolled: 1-line block ×3, first 2 shown]
	v_mov_b32_e32 v1, s3
	v_add_co_u32_e64 v0, s[0:1], s2, v6
	v_addc_co_u32_e64 v1, s[0:1], v7, v1, s[0:1]
	v_mad_u64_u32 v[28:29], s[0:1], s8, v30, 0
	global_load_dwordx2 v[2:3], v[0:1], off
	global_load_dwordx2 v[4:5], v76, s[12:13] offset:640
	global_load_dwordx2 v[6:7], v76, s[12:13] offset:800
	;; [unrolled: 1-line block ×4, first 2 shown]
	v_mov_b32_e32 v31, s3
	v_mad_u64_u32 v[29:30], s[0:1], s9, v30, v[29:30]
	v_add_co_u32_e64 v0, s[0:1], s2, v0
	v_addc_co_u32_e64 v1, s[0:1], v1, v31, s[0:1]
	v_mov_b32_e32 v32, s3
	global_load_dwordx2 v[30:31], v[0:1], off
	v_add_co_u32_e64 v0, s[0:1], s2, v0
	v_addc_co_u32_e64 v1, s[0:1], v1, v32, s[0:1]
	v_mov_b32_e32 v34, s3
	global_load_dwordx2 v[32:33], v[0:1], off
	v_add_co_u32_e64 v0, s[0:1], s2, v0
	v_addc_co_u32_e64 v1, s[0:1], v1, v34, s[0:1]
	v_lshlrev_b64 v[28:29], 3, v[28:29]
	global_load_dwordx2 v[34:35], v[0:1], off
	v_mad_u64_u32 v[0:1], s[0:1], s8, v36, v[0:1]
	v_add_co_u32_e64 v28, s[0:1], v71, v28
	v_addc_co_u32_e64 v29, s[0:1], v72, v29, s[0:1]
	s_mul_i32 s0, s9, 0x140
	v_add_u32_e32 v1, s0, v1
	global_load_dwordx2 v[36:37], v[0:1], off
	v_mov_b32_e32 v38, s3
	v_add_co_u32_e64 v0, s[0:1], s2, v0
	v_addc_co_u32_e64 v1, s[0:1], v1, v38, s[0:1]
	global_load_dwordx2 v[38:39], v[0:1], off
	v_mov_b32_e32 v41, s3
	v_add_co_u32_e64 v0, s[0:1], s2, v0
	v_addc_co_u32_e64 v1, s[0:1], v1, v41, s[0:1]
	global_load_dwordx2 v[28:29], v[28:29], off
	s_nop 0
	global_load_dwordx2 v[41:42], v[0:1], off
	global_load_dwordx2 v[43:44], v76, s[12:13] offset:1280
	global_load_dwordx2 v[45:46], v76, s[12:13] offset:1440
	;; [unrolled: 1-line block ×4, first 2 shown]
	v_mov_b32_e32 v51, s3
	v_add_co_u32_e64 v0, s[0:1], s2, v0
	v_addc_co_u32_e64 v1, s[0:1], v1, v51, s[0:1]
	global_load_dwordx2 v[51:52], v[0:1], off
	global_load_dwordx2 v[53:54], v76, s[12:13] offset:1920
	v_mov_b32_e32 v55, s3
	v_add_co_u32_e64 v0, s[0:1], s2, v0
	v_addc_co_u32_e64 v1, s[0:1], v1, v55, s[0:1]
	global_load_dwordx2 v[55:56], v[0:1], off
	v_mov_b32_e32 v57, s3
	v_add_co_u32_e64 v0, s[0:1], s2, v0
	v_addc_co_u32_e64 v1, s[0:1], v1, v57, s[0:1]
	v_mad_u64_u32 v[60:61], s[0:1], s8, v64, 0
	global_load_dwordx2 v[57:58], v[0:1], off
	v_mov_b32_e32 v62, s3
	v_add_co_u32_e64 v0, s[0:1], s2, v0
	v_addc_co_u32_e64 v1, s[0:1], v1, v62, s[0:1]
	global_load_dwordx2 v[62:63], v76, s[12:13] offset:2080
	s_waitcnt vmcnt(0)
	v_mad_u64_u32 v[64:65], s[0:1], s9, v64, v[61:62]
	global_load_dwordx2 v[65:66], v76, s[12:13] offset:2240
	global_load_dwordx2 v[67:68], v[0:1], off
	global_load_dwordx2 v[69:70], v76, s[12:13] offset:2400
	v_mov_b32_e32 v61, v64
	v_lshlrev_b64 v[0:1], 3, v[60:61]
	v_lshl_add_u32 v64, v75, 3, v77
	v_add_co_u32_e64 v0, s[0:1], v71, v0
	v_addc_co_u32_e64 v1, s[0:1], v72, v1, s[0:1]
	global_load_dwordx2 v[60:61], v[0:1], off
	global_load_dwordx2 v[71:72], v76, s[12:13] offset:2560
	v_mul_f32_e32 v0, v9, v17
	v_mul_f32_e32 v1, v8, v17
	v_fmac_f32_e32 v0, v8, v16
	v_fma_f32 v1, v9, v16, -v1
	v_mul_f32_e32 v8, v11, v19
	v_mul_f32_e32 v9, v10, v19
	ds_write_b64 v64, v[0:1]
	v_mul_f32_e32 v0, v13, v21
	v_mul_f32_e32 v1, v12, v21
	v_fmac_f32_e32 v8, v10, v18
	v_fma_f32 v9, v11, v18, -v9
	v_fmac_f32_e32 v0, v12, v20
	v_fma_f32 v1, v13, v20, -v1
	v_mul_f32_e32 v10, v15, v23
	v_mul_f32_e32 v11, v14, v23
	ds_write2_b64 v73, v[8:9], v[0:1] offset0:20 offset1:40
	v_mul_f32_e32 v0, v3, v5
	v_mul_f32_e32 v1, v2, v5
	v_fmac_f32_e32 v10, v14, v22
	v_fma_f32 v11, v15, v22, -v11
	v_fmac_f32_e32 v0, v2, v4
	v_fma_f32 v1, v3, v4, -v1
	ds_write2_b64 v73, v[10:11], v[0:1] offset0:60 offset1:80
	v_mul_f32_e32 v0, v31, v7
	v_mul_f32_e32 v1, v30, v7
	v_mul_f32_e32 v2, v33, v25
	v_mul_f32_e32 v3, v32, v25
	v_fmac_f32_e32 v0, v30, v6
	v_fma_f32 v1, v31, v6, -v1
	v_fmac_f32_e32 v2, v32, v24
	v_fma_f32 v3, v33, v24, -v3
	ds_write2_b64 v73, v[0:1], v[2:3] offset0:100 offset1:120
	v_mul_f32_e32 v0, v35, v27
	v_mul_f32_e32 v1, v34, v27
	v_mul_f32_e32 v2, v29, v44
	v_mul_f32_e32 v3, v28, v44
	v_fmac_f32_e32 v0, v34, v26
	v_fma_f32 v1, v35, v26, -v1
	v_fmac_f32_e32 v2, v28, v43
	v_fma_f32 v3, v29, v43, -v3
	ds_write2_b64 v73, v[0:1], v[2:3] offset0:140 offset1:160
	v_mul_f32_e32 v0, v37, v46
	v_mul_f32_e32 v1, v36, v46
	v_mul_f32_e32 v2, v39, v48
	v_mul_f32_e32 v3, v38, v48
	v_fmac_f32_e32 v0, v36, v45
	v_fma_f32 v1, v37, v45, -v1
	v_fmac_f32_e32 v2, v38, v47
	v_fma_f32 v3, v39, v47, -v3
	ds_write2_b64 v73, v[0:1], v[2:3] offset0:180 offset1:200
	v_mul_f32_e32 v0, v42, v50
	v_mul_f32_e32 v1, v41, v50
	v_mul_f32_e32 v2, v52, v54
	v_mul_f32_e32 v3, v51, v54
	v_fmac_f32_e32 v0, v41, v49
	v_fma_f32 v1, v42, v49, -v1
	v_fmac_f32_e32 v2, v51, v53
	v_fma_f32 v3, v52, v53, -v3
	ds_write2_b64 v73, v[0:1], v[2:3] offset0:220 offset1:240
	v_mul_f32_e32 v0, v56, v63
	v_mul_f32_e32 v1, v55, v63
	v_fmac_f32_e32 v0, v55, v62
	v_fma_f32 v1, v56, v62, -v1
	v_add_u32_e32 v4, 0x800, v73
	s_waitcnt vmcnt(4)
	v_mul_f32_e32 v2, v58, v66
	v_mul_f32_e32 v3, v57, v66
	v_fmac_f32_e32 v2, v57, v65
	v_fma_f32 v3, v58, v65, -v3
	ds_write2_b64 v4, v[0:1], v[2:3] offset0:4 offset1:24
	s_waitcnt vmcnt(2)
	v_mul_f32_e32 v0, v68, v70
	v_mul_f32_e32 v1, v67, v70
	v_fmac_f32_e32 v0, v67, v69
	v_fma_f32 v1, v68, v69, -v1
	s_waitcnt vmcnt(0)
	v_mul_f32_e32 v2, v61, v72
	v_mul_f32_e32 v3, v60, v72
	v_fmac_f32_e32 v2, v60, v71
	v_fma_f32 v3, v61, v71, -v3
	ds_write2_b64 v4, v[0:1], v[2:3] offset0:44 offset1:64
.LBB0_3:
	s_or_b64 exec, exec, s[6:7]
	s_load_dwordx2 s[0:1], s[4:5], 0x20
	s_load_dwordx2 s[2:3], s[4:5], 0x8
	v_mov_b32_e32 v4, 0
	v_mov_b32_e32 v5, 0
	s_waitcnt lgkmcnt(0)
	s_barrier
	s_waitcnt lgkmcnt(0)
                                        ; implicit-def: $vgpr10
                                        ; implicit-def: $vgpr12
                                        ; implicit-def: $vgpr28
                                        ; implicit-def: $vgpr32
                                        ; implicit-def: $vgpr36
                                        ; implicit-def: $vgpr26
                                        ; implicit-def: $vgpr22
                                        ; implicit-def: $vgpr18
	s_and_saveexec_b64 s[4:5], vcc
	s_cbranch_execz .LBB0_5
; %bb.4:
	v_lshl_add_u32 v0, v59, 3, v76
	ds_read2_b64 v[4:7], v0 offset1:20
	ds_read2_b64 v[16:19], v0 offset0:40 offset1:60
	ds_read2_b64 v[20:23], v0 offset0:80 offset1:100
	;; [unrolled: 1-line block ×5, first 2 shown]
	v_add_u32_e32 v1, 0x400, v0
	ds_read2_b64 v[28:31], v1 offset0:112 offset1:132
	v_add_u32_e32 v1, 0x800, v0
	ds_read2_b64 v[32:35], v1 offset0:24 offset1:44
	ds_read_b64 v[36:37], v0 offset:2560
.LBB0_5:
	s_or_b64 exec, exec, s[4:5]
	s_waitcnt lgkmcnt(0)
	v_sub_f32_e32 v80, v7, v37
	v_mul_f32_e32 v52, 0xbeb8f4ab, v80
	v_sub_f32_e32 v86, v17, v35
	v_add_f32_e32 v49, v36, v6
	v_sub_f32_e32 v83, v6, v36
	v_mov_b32_e32 v0, v52
	v_mul_f32_e32 v56, 0xbf2c7751, v86
	v_add_f32_e32 v50, v37, v7
	s_mov_b32 s6, 0x3f6eb680
	v_mul_f32_e32 v54, 0xbeb8f4ab, v83
	v_fmac_f32_e32 v0, 0x3f6eb680, v49
	v_add_f32_e32 v51, v34, v16
	v_sub_f32_e32 v88, v16, v34
	v_mov_b32_e32 v2, v56
	v_add_f32_e32 v0, v0, v4
	v_fma_f32 v1, v50, s6, -v54
	s_mov_b32 s7, 0x3f3d2fb0
	v_add_f32_e32 v53, v35, v17
	v_mul_f32_e32 v58, 0xbf2c7751, v88
	v_fmac_f32_e32 v2, 0x3f3d2fb0, v51
	v_sub_f32_e32 v90, v19, v33
	v_add_f32_e32 v1, v1, v5
	v_add_f32_e32 v0, v2, v0
	v_fma_f32 v2, v53, s7, -v58
	v_mul_f32_e32 v61, 0xbf65296c, v90
	v_add_f32_e32 v1, v2, v1
	v_add_f32_e32 v55, v32, v18
	v_sub_f32_e32 v91, v18, v32
	v_mov_b32_e32 v2, v61
	s_mov_b32 s8, 0x3ee437d1
	v_add_f32_e32 v57, v33, v19
	v_mul_f32_e32 v63, 0xbf65296c, v91
	v_fmac_f32_e32 v2, 0x3ee437d1, v55
	v_sub_f32_e32 v96, v21, v31
	v_add_f32_e32 v0, v2, v0
	v_fma_f32 v2, v57, s8, -v63
	v_mul_f32_e32 v65, 0xbf7ee86f, v96
	v_add_f32_e32 v1, v2, v1
	v_add_f32_e32 v60, v30, v20
	v_mov_b32_e32 v2, v65
	v_sub_f32_e32 v108, v20, v30
	s_mov_b32 s9, 0x3dbcf732
	v_add_f32_e32 v62, v31, v21
	v_fmac_f32_e32 v2, 0x3dbcf732, v60
	v_mul_f32_e32 v67, 0xbf7ee86f, v108
	v_sub_f32_e32 v110, v23, v29
	v_add_f32_e32 v0, v2, v0
	v_fma_f32 v2, v62, s9, -v67
	v_mul_f32_e32 v69, 0xbf763a35, v110
	v_add_f32_e32 v1, v2, v1
	v_add_f32_e32 v64, v28, v22
	v_mov_b32_e32 v2, v69
	v_sub_f32_e32 v115, v22, v28
	v_fmac_f32_e32 v2, 0xbe8c1d8e, v64
	s_mov_b32 s10, 0xbe8c1d8e
	v_add_f32_e32 v66, v29, v23
	v_mul_f32_e32 v71, 0xbf763a35, v115
	v_sub_f32_e32 v123, v25, v15
	v_add_f32_e32 v0, v2, v0
	v_fma_f32 v2, v66, s10, -v71
	v_mul_f32_e32 v73, 0xbf4c4adb, v123
	v_add_f32_e32 v1, v2, v1
	v_add_f32_e32 v68, v14, v24
	v_mov_b32_e32 v2, v73
	v_sub_f32_e32 v129, v24, v14
	v_fmac_f32_e32 v2, 0xbf1a4643, v68
	s_mov_b32 s11, 0xbf1a4643
	v_add_f32_e32 v70, v15, v25
	;; [unrolled: 12-line block ×3, first 2 shown]
	v_mul_f32_e32 v85, 0xbf06c442, v141
	v_sub_f32_e32 v147, v9, v11
	v_add_f32_e32 v0, v2, v0
	v_fma_f32 v2, v74, s16, -v85
	v_mul_f32_e32 v87, 0xbe3c28d5, v147
	v_add_f32_e32 v1, v2, v1
	v_add_f32_e32 v81, v10, v8
	v_mov_b32_e32 v2, v87
	v_sub_f32_e32 v149, v8, v10
	s_mov_b32 s17, 0xbf7ba420
	v_fmac_f32_e32 v2, 0xbf7ba420, v81
	v_add_f32_e32 v84, v11, v9
	v_mul_f32_e32 v89, 0xbe3c28d5, v149
	v_mul_f32_e32 v92, 0xbf2c7751, v80
	v_fma_f32 v3, v84, s17, -v89
	v_add_f32_e32 v2, v2, v0
	v_mov_b32_e32 v0, v92
	v_mul_f32_e32 v93, 0xbf7ee86f, v86
	v_add_f32_e32 v3, v3, v1
	v_fmac_f32_e32 v0, 0x3f3d2fb0, v49
	v_mov_b32_e32 v1, v93
	v_add_f32_e32 v0, v0, v4
	v_fmac_f32_e32 v1, 0x3dbcf732, v51
	v_mul_f32_e32 v98, 0xbf2c7751, v83
	v_add_f32_e32 v0, v1, v0
	v_fma_f32 v1, v50, s7, -v98
	v_mul_f32_e32 v99, 0xbf7ee86f, v88
	v_add_f32_e32 v1, v1, v5
	v_fma_f32 v38, v53, s9, -v99
	v_mul_f32_e32 v94, 0xbf4c4adb, v90
	v_add_f32_e32 v1, v38, v1
	v_mov_b32_e32 v38, v94
	v_fmac_f32_e32 v38, 0xbf1a4643, v55
	v_mul_f32_e32 v101, 0xbf4c4adb, v91
	v_add_f32_e32 v0, v38, v0
	v_fma_f32 v38, v57, s11, -v101
	v_mul_f32_e32 v95, 0xbe3c28d5, v96
	v_add_f32_e32 v1, v38, v1
	v_mov_b32_e32 v38, v95
	v_fmac_f32_e32 v38, 0xbf7ba420, v60
	v_mul_f32_e32 v103, 0xbe3c28d5, v108
	v_add_f32_e32 v0, v38, v0
	v_fma_f32 v38, v62, s17, -v103
	v_mul_f32_e32 v97, 0x3f06c442, v110
	v_add_f32_e32 v1, v38, v1
	v_mov_b32_e32 v38, v97
	v_fmac_f32_e32 v38, 0xbf59a7d5, v64
	v_mul_f32_e32 v105, 0x3f06c442, v115
	v_add_f32_e32 v0, v38, v0
	v_fma_f32 v38, v66, s16, -v105
	v_mul_f32_e32 v100, 0x3f763a35, v123
	v_add_f32_e32 v1, v38, v1
	v_mov_b32_e32 v38, v100
	v_fmac_f32_e32 v38, 0xbe8c1d8e, v68
	v_mul_f32_e32 v106, 0x3f763a35, v129
	v_add_f32_e32 v0, v38, v0
	v_fma_f32 v38, v70, s10, -v106
	v_mul_f32_e32 v102, 0x3f65296c, v131
	v_add_f32_e32 v1, v38, v1
	v_mov_b32_e32 v38, v102
	v_fmac_f32_e32 v38, 0x3ee437d1, v72
	v_mul_f32_e32 v107, 0x3f65296c, v141
	v_add_f32_e32 v0, v38, v0
	v_fma_f32 v38, v74, s8, -v107
	v_mul_f32_e32 v104, 0x3eb8f4ab, v147
	v_add_f32_e32 v1, v38, v1
	v_mov_b32_e32 v38, v104
	v_fmac_f32_e32 v38, 0x3f6eb680, v81
	v_mul_f32_e32 v109, 0x3eb8f4ab, v149
	v_add_f32_e32 v0, v38, v0
	v_fma_f32 v38, v84, s6, -v109
	v_mul_f32_e32 v111, 0xbf65296c, v80
	v_add_f32_e32 v1, v38, v1
	v_mov_b32_e32 v38, v111
	v_mul_f32_e32 v112, 0xbf4c4adb, v86
	v_fmac_f32_e32 v38, 0x3ee437d1, v49
	v_mov_b32_e32 v39, v112
	v_add_f32_e32 v38, v38, v4
	v_fmac_f32_e32 v39, 0xbf1a4643, v51
	v_mul_f32_e32 v117, 0xbf65296c, v83
	v_add_f32_e32 v38, v39, v38
	v_fma_f32 v39, v50, s8, -v117
	v_mul_f32_e32 v118, 0xbf4c4adb, v88
	v_add_f32_e32 v39, v39, v5
	v_fma_f32 v41, v53, s11, -v118
	v_mul_f32_e32 v113, 0x3e3c28d5, v90
	v_add_f32_e32 v39, v41, v39
	v_mov_b32_e32 v41, v113
	v_fmac_f32_e32 v41, 0xbf7ba420, v55
	v_mul_f32_e32 v120, 0x3e3c28d5, v91
	v_add_f32_e32 v38, v41, v38
	v_fma_f32 v41, v57, s17, -v120
	v_mul_f32_e32 v114, 0x3f763a35, v96
	v_add_f32_e32 v39, v41, v39
	v_mov_b32_e32 v41, v114
	v_fmac_f32_e32 v41, 0xbe8c1d8e, v60
	v_mul_f32_e32 v122, 0x3f763a35, v108
	v_add_f32_e32 v38, v41, v38
	v_fma_f32 v41, v62, s10, -v122
	v_mul_f32_e32 v116, 0x3f2c7751, v110
	v_add_f32_e32 v39, v41, v39
	v_mov_b32_e32 v41, v116
	v_fmac_f32_e32 v41, 0x3f3d2fb0, v64
	v_mul_f32_e32 v125, 0x3f2c7751, v115
	v_add_f32_e32 v38, v41, v38
	v_fma_f32 v41, v66, s7, -v125
	v_mul_f32_e32 v119, 0xbeb8f4ab, v123
	v_add_f32_e32 v39, v41, v39
	v_mov_b32_e32 v41, v119
	v_fmac_f32_e32 v41, 0x3f6eb680, v68
	v_mul_f32_e32 v126, 0xbeb8f4ab, v129
	v_add_f32_e32 v38, v41, v38
	v_fma_f32 v41, v70, s6, -v126
	v_mul_f32_e32 v121, 0xbf7ee86f, v131
	v_add_f32_e32 v39, v41, v39
	v_mov_b32_e32 v41, v121
	v_fmac_f32_e32 v41, 0x3dbcf732, v72
	v_mul_f32_e32 v127, 0xbf7ee86f, v141
	v_add_f32_e32 v38, v41, v38
	v_fma_f32 v41, v74, s9, -v127
	v_mul_f32_e32 v124, 0xbf06c442, v147
	v_add_f32_e32 v39, v41, v39
	v_mov_b32_e32 v41, v124
	v_fmac_f32_e32 v41, 0xbf59a7d5, v81
	v_mul_f32_e32 v128, 0xbf06c442, v149
	v_add_f32_e32 v38, v41, v38
	v_fma_f32 v41, v84, s16, -v128
	v_mul_f32_e32 v130, 0xbf7ee86f, v80
	v_add_f32_e32 v39, v41, v39
	v_mov_b32_e32 v41, v130
	v_mul_f32_e32 v132, 0xbe3c28d5, v86
	v_fmac_f32_e32 v41, 0x3dbcf732, v49
	v_mov_b32_e32 v42, v132
	v_add_f32_e32 v41, v41, v4
	v_fmac_f32_e32 v42, 0xbf7ba420, v51
	v_mul_f32_e32 v136, 0xbf7ee86f, v83
	v_add_f32_e32 v41, v42, v41
	v_fma_f32 v42, v50, s9, -v136
	v_mul_f32_e32 v137, 0xbe3c28d5, v88
	v_add_f32_e32 v42, v42, v5
	v_fma_f32 v43, v53, s17, -v137
	v_mul_f32_e32 v133, 0x3f763a35, v90
	v_add_f32_e32 v42, v43, v42
	v_mov_b32_e32 v43, v133
	v_fmac_f32_e32 v43, 0xbe8c1d8e, v55
	v_mul_f32_e32 v139, 0x3f763a35, v91
	v_add_f32_e32 v41, v43, v41
	v_fma_f32 v43, v57, s10, -v139
	v_mul_f32_e32 v134, 0x3eb8f4ab, v96
	v_add_f32_e32 v42, v43, v42
	v_mov_b32_e32 v43, v134
	v_fmac_f32_e32 v43, 0x3f6eb680, v60
	v_mul_f32_e32 v142, 0x3eb8f4ab, v108
	v_add_f32_e32 v41, v43, v41
	v_fma_f32 v43, v62, s6, -v142
	v_mul_f32_e32 v135, 0xbf65296c, v110
	v_add_f32_e32 v42, v43, v42
	v_mov_b32_e32 v43, v135
	v_fmac_f32_e32 v43, 0x3ee437d1, v64
	v_mul_f32_e32 v144, 0xbf65296c, v115
	v_add_f32_e32 v41, v43, v41
	v_fma_f32 v43, v66, s8, -v144
	v_mul_f32_e32 v138, 0xbf06c442, v123
	v_add_f32_e32 v42, v43, v42
	v_mov_b32_e32 v43, v138
	v_fmac_f32_e32 v43, 0xbf59a7d5, v68
	v_mul_f32_e32 v145, 0xbf06c442, v129
	v_add_f32_e32 v41, v43, v41
	v_fma_f32 v43, v70, s16, -v145
	v_mul_f32_e32 v140, 0x3f4c4adb, v131
	v_add_f32_e32 v42, v43, v42
	v_mov_b32_e32 v43, v140
	v_fmac_f32_e32 v43, 0xbf1a4643, v72
	v_mul_f32_e32 v146, 0x3f4c4adb, v141
	v_add_f32_e32 v41, v43, v41
	v_fma_f32 v43, v74, s11, -v146
	v_mul_f32_e32 v143, 0x3f2c7751, v147
	v_add_f32_e32 v42, v43, v42
	v_mov_b32_e32 v43, v143
	v_fmac_f32_e32 v43, 0x3f3d2fb0, v81
	v_mul_f32_e32 v148, 0x3f2c7751, v149
	v_add_f32_e32 v41, v43, v41
	v_fma_f32 v43, v84, s7, -v148
	v_mul_f32_e32 v150, 0xbf763a35, v80
	v_add_f32_e32 v42, v43, v42
	v_mov_b32_e32 v43, v150
	v_mul_f32_e32 v151, 0x3f06c442, v86
	v_fmac_f32_e32 v43, 0xbe8c1d8e, v49
	v_mov_b32_e32 v44, v151
	v_add_f32_e32 v43, v43, v4
	v_fmac_f32_e32 v44, 0xbf59a7d5, v51
	v_mul_f32_e32 v155, 0xbf763a35, v83
	v_add_f32_e32 v43, v44, v43
	v_fma_f32 v44, v50, s10, -v155
	v_mul_f32_e32 v156, 0x3f06c442, v88
	v_add_f32_e32 v44, v44, v5
	v_fma_f32 v45, v53, s16, -v156
	v_mul_f32_e32 v152, 0x3f2c7751, v90
	v_add_f32_e32 v44, v45, v44
	v_mov_b32_e32 v45, v152
	v_fmac_f32_e32 v45, 0x3f3d2fb0, v55
	v_mul_f32_e32 v158, 0x3f2c7751, v91
	v_add_f32_e32 v43, v45, v43
	v_fma_f32 v45, v57, s7, -v158
	v_mul_f32_e32 v153, 0xbf65296c, v96
	v_add_f32_e32 v44, v45, v44
	v_mov_b32_e32 v45, v153
	v_fmac_f32_e32 v45, 0x3ee437d1, v60
	v_mul_f32_e32 v160, 0xbf65296c, v108
	v_add_f32_e32 v43, v45, v43
	v_fma_f32 v45, v62, s8, -v160
	v_mul_f32_e32 v154, 0xbe3c28d5, v110
	v_add_f32_e32 v44, v45, v44
	v_mov_b32_e32 v45, v154
	v_fmac_f32_e32 v45, 0xbf7ba420, v64
	v_mul_f32_e32 v162, 0xbe3c28d5, v115
	v_add_f32_e32 v43, v45, v43
	v_fma_f32 v45, v66, s17, -v162
	v_mul_f32_e32 v157, 0x3f7ee86f, v123
	v_add_f32_e32 v44, v45, v44
	v_mov_b32_e32 v45, v157
	v_fmac_f32_e32 v45, 0x3dbcf732, v68
	v_mul_f32_e32 v163, 0x3f7ee86f, v129
	v_add_f32_e32 v43, v45, v43
	v_fma_f32 v45, v70, s9, -v163
	v_mul_f32_e32 v159, 0xbeb8f4ab, v131
	v_add_f32_e32 v44, v45, v44
	v_mov_b32_e32 v45, v159
	v_fmac_f32_e32 v45, 0x3f6eb680, v72
	v_mul_f32_e32 v164, 0xbeb8f4ab, v141
	v_add_f32_e32 v43, v45, v43
	v_fma_f32 v45, v74, s6, -v164
	v_mul_f32_e32 v161, 0xbf4c4adb, v147
	v_add_f32_e32 v44, v45, v44
	v_mov_b32_e32 v45, v161
	v_fmac_f32_e32 v45, 0xbf1a4643, v81
	v_mul_f32_e32 v165, 0xbf4c4adb, v149
	v_add_f32_e32 v43, v45, v43
	v_fma_f32 v45, v84, s11, -v165
	v_mul_f32_e32 v166, 0xbf4c4adb, v80
	v_add_f32_e32 v44, v45, v44
	v_mov_b32_e32 v45, v166
	v_mul_f32_e32 v167, 0x3f763a35, v86
	v_fmac_f32_e32 v45, 0xbf1a4643, v49
	v_mov_b32_e32 v46, v167
	v_add_f32_e32 v45, v45, v4
	v_fmac_f32_e32 v46, 0xbe8c1d8e, v51
	v_mul_f32_e32 v174, 0xbf4c4adb, v83
	v_add_f32_e32 v45, v46, v45
	v_fma_f32 v46, v50, s11, -v174
	v_mul_f32_e32 v175, 0x3f763a35, v88
	v_add_f32_e32 v46, v46, v5
	v_fma_f32 v47, v53, s10, -v175
	v_mul_f32_e32 v168, 0xbeb8f4ab, v90
	v_add_f32_e32 v46, v47, v46
	v_mov_b32_e32 v47, v168
	v_fmac_f32_e32 v47, 0x3f6eb680, v55
	v_mul_f32_e32 v176, 0xbeb8f4ab, v91
	v_add_f32_e32 v45, v47, v45
	v_fma_f32 v47, v57, s6, -v176
	v_mul_f32_e32 v169, 0xbf06c442, v96
	v_add_f32_e32 v46, v47, v46
	v_mov_b32_e32 v47, v169
	v_fmac_f32_e32 v47, 0xbf59a7d5, v60
	v_mul_f32_e32 v177, 0xbf06c442, v108
	v_add_f32_e32 v45, v47, v45
	v_fma_f32 v47, v62, s16, -v177
	v_mul_f32_e32 v170, 0x3f7ee86f, v110
	v_add_f32_e32 v46, v47, v46
	v_mov_b32_e32 v47, v170
	v_fmac_f32_e32 v47, 0x3dbcf732, v64
	v_mul_f32_e32 v178, 0x3f7ee86f, v115
	v_add_f32_e32 v45, v47, v45
	v_fma_f32 v47, v66, s9, -v178
	v_mul_f32_e32 v171, 0xbf2c7751, v123
	v_add_f32_e32 v46, v47, v46
	v_mov_b32_e32 v47, v171
	v_fmac_f32_e32 v47, 0x3f3d2fb0, v68
	v_mul_f32_e32 v179, 0xbf2c7751, v129
	v_add_f32_e32 v45, v47, v45
	v_fma_f32 v47, v70, s7, -v179
	v_mul_f32_e32 v172, 0xbe3c28d5, v131
	v_add_f32_e32 v46, v47, v46
	v_mov_b32_e32 v47, v172
	v_fmac_f32_e32 v47, 0xbf7ba420, v72
	v_mul_f32_e32 v180, 0xbe3c28d5, v141
	v_add_f32_e32 v45, v47, v45
	v_fma_f32 v47, v74, s17, -v180
	v_mul_f32_e32 v173, 0x3f65296c, v147
	v_add_f32_e32 v46, v47, v46
	v_mov_b32_e32 v47, v173
	v_fmac_f32_e32 v47, 0x3ee437d1, v81
	v_mul_f32_e32 v181, 0x3f65296c, v149
	v_add_f32_e32 v45, v47, v45
	v_fma_f32 v47, v84, s8, -v181
	v_mul_f32_e32 v182, 0xbf06c442, v80
	v_add_f32_e32 v46, v47, v46
	v_mov_b32_e32 v47, v182
	v_mul_f32_e32 v183, 0x3f65296c, v86
	v_fmac_f32_e32 v47, 0xbf59a7d5, v49
	v_mov_b32_e32 v48, v183
	v_add_f32_e32 v47, v47, v4
	v_fmac_f32_e32 v48, 0x3ee437d1, v51
	v_mul_f32_e32 v190, 0xbf06c442, v83
	v_add_f32_e32 v47, v48, v47
	v_fma_f32 v48, v50, s16, -v190
	v_mul_f32_e32 v191, 0x3f65296c, v88
	v_add_f32_e32 v48, v48, v5
	v_fma_f32 v78, v53, s8, -v191
	v_mul_f32_e32 v184, 0xbf7ee86f, v90
	v_add_f32_e32 v48, v78, v48
	v_mov_b32_e32 v78, v184
	v_fmac_f32_e32 v78, 0x3dbcf732, v55
	v_mul_f32_e32 v192, 0xbf7ee86f, v91
	v_add_f32_e32 v47, v78, v47
	v_fma_f32 v78, v57, s9, -v192
	v_mul_f32_e32 v185, 0x3f4c4adb, v96
	v_add_f32_e32 v48, v78, v48
	v_mov_b32_e32 v78, v185
	v_fmac_f32_e32 v78, 0xbf1a4643, v60
	;; [unrolled: 7-line block ×6, first 2 shown]
	v_mul_f32_e32 v197, 0xbf763a35, v149
	v_add_f32_e32 v47, v78, v47
	v_fma_f32 v78, v84, s10, -v197
	v_add_f32_e32 v48, v78, v48
	v_mul_lo_u16_e32 v78, 17, v75
	s_barrier
	s_and_saveexec_b64 s[4:5], vcc
	s_cbranch_execz .LBB0_7
; %bb.6:
	v_mul_f32_e32 v83, 0xbe3c28d5, v83
	v_mov_b32_e32 v250, v83
	v_mul_f32_e32 v88, 0x3eb8f4ab, v88
	v_fmac_f32_e32 v250, 0xbf7ba420, v50
	v_mov_b32_e32 v251, v88
	v_add_f32_e32 v250, v250, v5
	v_fmac_f32_e32 v251, 0x3f6eb680, v53
	v_add_f32_e32 v250, v251, v250
	v_mul_f32_e32 v251, 0xbf06c442, v91
	v_mov_b32_e32 v91, v251
	v_fmac_f32_e32 v91, 0xbf59a7d5, v57
	v_mul_f32_e32 v108, 0x3f2c7751, v108
	v_add_f32_e32 v91, v91, v250
	v_mov_b32_e32 v250, v108
	v_fmac_f32_e32 v250, 0x3f3d2fb0, v62
	v_add_f32_e32 v91, v250, v91
	v_mul_f32_e32 v250, 0xbf4c4adb, v115
	v_mov_b32_e32 v115, v250
	v_fmac_f32_e32 v115, 0xbf1a4643, v66
	v_mul_f32_e32 v129, 0x3f65296c, v129
	v_add_f32_e32 v91, v115, v91
	v_mov_b32_e32 v115, v129
	v_fmac_f32_e32 v115, 0x3ee437d1, v70
	v_mul_f32_e32 v141, 0xbf763a35, v141
	v_add_f32_e32 v91, v115, v91
	;; [unrolled: 4-line block ×3, first 2 shown]
	v_mov_b32_e32 v115, v149
	v_mul_f32_e32 v252, 0xbe3c28d5, v80
	v_fmac_f32_e32 v115, 0x3dbcf732, v84
	v_fma_f32 v80, v49, s17, -v252
	v_mul_f32_e32 v86, 0x3eb8f4ab, v86
	v_add_f32_e32 v91, v115, v91
	v_add_f32_e32 v80, v80, v4
	v_fma_f32 v115, v51, s6, -v86
	v_mul_f32_e32 v253, 0xbf06c442, v90
	v_add_f32_e32 v80, v115, v80
	v_fma_f32 v90, v55, s16, -v253
	v_mul_f32_e32 v254, 0x3f2c7751, v96
	;; [unrolled: 3-line block ×4, first 2 shown]
	v_mul_f32_e32 v208, 0xbf1a4643, v49
	v_mul_f32_e32 v209, 0xbf1a4643, v50
	v_add_f32_e32 v80, v90, v80
	v_fma_f32 v90, v68, s8, -v123
	v_mul_f32_e32 v255, 0xbf763a35, v131
	v_mul_f32_e32 v210, 0xbf59a7d5, v49
	;; [unrolled: 1-line block ×4, first 2 shown]
	v_add_f32_e32 v80, v90, v80
	v_fma_f32 v90, v72, s10, -v255
	v_mul_f32_e32 v147, 0x3f7ee86f, v147
	v_add_f32_e32 v174, v174, v209
	v_sub_f32_e32 v166, v208, v166
	v_mul_f32_e32 v224, 0x3ee437d1, v51
	v_mul_f32_e32 v236, 0x3f6eb680, v55
	v_mul_f32_e32 v237, 0x3f6eb680, v57
	v_add_f32_e32 v80, v90, v80
	v_fma_f32 v90, v81, s9, -v147
	v_sub_f32_e32 v182, v210, v182
	v_add_f32_e32 v175, v175, v223
	v_add_f32_e32 v174, v174, v5
	v_sub_f32_e32 v167, v222, v167
	v_add_f32_e32 v166, v166, v4
	v_mul_f32_e32 v211, 0xbf59a7d5, v50
	v_mul_f32_e32 v225, 0x3ee437d1, v53
	;; [unrolled: 1-line block ×3, first 2 shown]
	v_add_f32_e32 v90, v90, v80
	v_mul_f32_e32 v80, 0xbf59a7d5, v60
	v_mul_f32_e32 v96, 0xbf59a7d5, v62
	v_sub_f32_e32 v183, v224, v183
	v_add_f32_e32 v182, v182, v4
	v_add_f32_e32 v174, v175, v174
	;; [unrolled: 1-line block ×4, first 2 shown]
	v_sub_f32_e32 v168, v236, v168
	v_add_f32_e32 v115, v190, v211
	v_add_f32_e32 v190, v191, v225
	;; [unrolled: 1-line block ×3, first 2 shown]
	v_mul_f32_e32 v225, 0x3dbcf732, v64
	v_sub_f32_e32 v183, v238, v184
	v_mul_f32_e32 v184, 0x3dbcf732, v66
	v_add_f32_e32 v174, v176, v174
	v_add_f32_e32 v96, v177, v96
	;; [unrolled: 1-line block ×3, first 2 shown]
	v_sub_f32_e32 v80, v80, v169
	v_mul_f32_e32 v175, 0x3f3d2fb0, v68
	v_mul_f32_e32 v223, 0x3f3d2fb0, v70
	v_add_f32_e32 v96, v96, v174
	v_add_f32_e32 v178, v178, v184
	;; [unrolled: 1-line block ×3, first 2 shown]
	v_sub_f32_e32 v166, v225, v170
	v_add_f32_e32 v96, v178, v96
	v_add_f32_e32 v179, v179, v223
	v_mul_f32_e32 v167, 0xbf7ba420, v72
	v_add_f32_e32 v80, v166, v80
	v_sub_f32_e32 v166, v175, v171
	v_add_f32_e32 v96, v179, v96
	v_mul_f32_e32 v179, 0xbf7ba420, v74
	v_add_f32_e32 v80, v166, v80
	v_sub_f32_e32 v166, v167, v172
	v_add_f32_e32 v179, v180, v179
	v_add_f32_e32 v80, v166, v80
	v_mul_f32_e32 v166, 0x3ee437d1, v81
	v_mul_f32_e32 v207, 0xbe8c1d8e, v50
	v_add_f32_e32 v96, v179, v96
	v_mul_f32_e32 v179, 0x3ee437d1, v84
	v_sub_f32_e32 v166, v166, v173
	v_mul_f32_e32 v221, 0xbf59a7d5, v53
	v_add_f32_e32 v179, v181, v179
	v_add_f32_e32 v166, v166, v80
	;; [unrolled: 1-line block ×3, first 2 shown]
	v_mul_f32_e32 v235, 0x3f3d2fb0, v57
	v_mul_f32_e32 v239, 0x3dbcf732, v57
	v_add_f32_e32 v115, v115, v5
	v_add_f32_e32 v167, v179, v96
	;; [unrolled: 1-line block ×4, first 2 shown]
	v_mul_f32_e32 v249, 0x3ee437d1, v62
	v_mul_f32_e32 v191, 0xbf1a4643, v62
	v_add_f32_e32 v115, v190, v115
	v_add_f32_e32 v192, v192, v239
	;; [unrolled: 1-line block ×6, first 2 shown]
	v_mul_f32_e32 v224, 0xbf7ba420, v66
	v_add_f32_e32 v80, v96, v80
	v_add_f32_e32 v96, v160, v249
	;; [unrolled: 1-line block ×3, first 2 shown]
	v_mul_f32_e32 v191, 0x3f6eb680, v66
	v_mul_f32_e32 v209, 0x3dbcf732, v70
	v_add_f32_e32 v80, v96, v80
	v_add_f32_e32 v96, v162, v224
	;; [unrolled: 1-line block ×3, first 2 shown]
	v_mul_f32_e32 v222, 0x3f6eb680, v74
	v_add_f32_e32 v80, v96, v80
	v_add_f32_e32 v96, v163, v209
	;; [unrolled: 1-line block ×3, first 2 shown]
	v_mul_f32_e32 v191, 0xbf7ba420, v70
	v_mul_f32_e32 v173, 0xbf1a4643, v84
	v_add_f32_e32 v80, v96, v80
	v_add_f32_e32 v96, v164, v222
	v_mul_f32_e32 v206, 0xbe8c1d8e, v49
	v_add_f32_e32 v191, v195, v191
	v_add_f32_e32 v80, v96, v80
	;; [unrolled: 1-line block ×3, first 2 shown]
	v_mul_f32_e32 v220, 0xbf59a7d5, v51
	v_add_f32_e32 v115, v191, v115
	v_mul_f32_e32 v191, 0x3f3d2fb0, v74
	v_add_f32_e32 v155, v96, v80
	v_sub_f32_e32 v80, v206, v150
	v_mul_f32_e32 v234, 0x3f3d2fb0, v55
	v_add_f32_e32 v191, v196, v191
	v_add_f32_e32 v80, v80, v4
	v_sub_f32_e32 v96, v220, v151
	v_mul_f32_e32 v248, 0x3ee437d1, v60
	v_mul_f32_e32 v131, 0xbf1a4643, v60
	v_add_f32_e32 v115, v191, v115
	v_mul_f32_e32 v191, 0xbe8c1d8e, v84
	v_add_f32_e32 v80, v96, v80
	v_sub_f32_e32 v96, v234, v152
	v_add_f32_e32 v191, v197, v191
	v_mul_f32_e32 v210, 0xbf7ba420, v64
	v_add_f32_e32 v182, v183, v182
	v_mul_f32_e32 v183, 0x3f6eb680, v64
	v_sub_f32_e32 v131, v131, v185
	v_add_f32_e32 v80, v96, v80
	v_sub_f32_e32 v96, v248, v153
	v_add_f32_e32 v131, v131, v182
	;; [unrolled: 2-line block ×3, first 2 shown]
	v_mul_f32_e32 v191, 0x3dbcf732, v68
	v_add_f32_e32 v80, v96, v80
	v_sub_f32_e32 v96, v210, v154
	v_mul_f32_e32 v208, 0x3f6eb680, v72
	v_add_f32_e32 v80, v96, v80
	v_sub_f32_e32 v96, v191, v157
	v_add_f32_e32 v131, v182, v131
	v_mul_f32_e32 v182, 0xbf7ba420, v68
	v_mul_f32_e32 v172, 0xbf1a4643, v81
	v_add_f32_e32 v80, v96, v80
	v_sub_f32_e32 v96, v208, v159
	v_mul_f32_e32 v205, 0x3dbcf732, v50
	v_sub_f32_e32 v182, v182, v187
	v_add_f32_e32 v80, v96, v80
	v_sub_f32_e32 v96, v172, v161
	v_mul_f32_e32 v219, 0xbf7ba420, v53
	v_add_f32_e32 v131, v182, v131
	v_mul_f32_e32 v182, 0x3f3d2fb0, v72
	v_add_f32_e32 v154, v96, v80
	v_add_f32_e32 v80, v136, v205
	v_mul_f32_e32 v233, 0xbe8c1d8e, v57
	v_sub_f32_e32 v182, v182, v188
	v_add_f32_e32 v80, v80, v5
	v_add_f32_e32 v96, v137, v219
	v_mul_f32_e32 v247, 0x3f6eb680, v62
	v_add_f32_e32 v131, v182, v131
	v_mul_f32_e32 v182, 0xbe8c1d8e, v81
	v_add_f32_e32 v80, v96, v80
	v_add_f32_e32 v96, v139, v233
	v_mul_f32_e32 v197, 0x3ee437d1, v66
	v_sub_f32_e32 v182, v182, v189
	v_add_f32_e32 v80, v96, v80
	v_add_f32_e32 v96, v142, v247
	;; [unrolled: 1-line block ×3, first 2 shown]
	v_mul_f32_e32 v131, 0xbf59a7d5, v70
	v_add_f32_e32 v80, v96, v80
	v_add_f32_e32 v96, v144, v197
	v_mul_f32_e32 v181, 0xbf1a4643, v74
	v_add_f32_e32 v80, v96, v80
	v_add_f32_e32 v96, v145, v131
	;; [unrolled: 3-line block ×4, first 2 shown]
	v_mul_f32_e32 v218, 0xbf7ba420, v51
	v_add_f32_e32 v131, v96, v80
	v_sub_f32_e32 v80, v204, v130
	v_mul_f32_e32 v232, 0xbe8c1d8e, v55
	v_add_f32_e32 v80, v80, v4
	v_sub_f32_e32 v96, v218, v132
	;; [unrolled: 3-line block ×8, first 2 shown]
	v_mul_f32_e32 v217, 0xbf1a4643, v53
	v_add_f32_e32 v130, v96, v80
	v_add_f32_e32 v80, v117, v203
	v_mul_f32_e32 v231, 0xbf7ba420, v57
	v_add_f32_e32 v80, v80, v5
	v_add_f32_e32 v96, v118, v217
	v_mul_f32_e32 v245, 0xbe8c1d8e, v62
	v_add_f32_e32 v80, v96, v80
	v_add_f32_e32 v96, v120, v231
	v_mul_f32_e32 v195, 0x3f3d2fb0, v66
	v_add_f32_e32 v80, v96, v80
	v_add_f32_e32 v96, v122, v245
	v_mul_f32_e32 v189, 0x3f6eb680, v70
	v_add_f32_e32 v80, v96, v80
	v_add_f32_e32 v96, v125, v195
	v_mul_f32_e32 v223, 0x3dbcf732, v74
	v_add_f32_e32 v80, v96, v80
	v_add_f32_e32 v96, v126, v189
	v_mul_f32_e32 v225, 0xbf59a7d5, v84
	v_add_f32_e32 v80, v96, v80
	v_add_f32_e32 v96, v127, v223
	v_mul_f32_e32 v202, 0x3ee437d1, v49
	v_add_f32_e32 v80, v96, v80
	v_add_f32_e32 v96, v128, v225
	v_mul_f32_e32 v216, 0xbf1a4643, v51
	v_add_f32_e32 v115, v96, v80
	v_sub_f32_e32 v80, v202, v111
	v_mul_f32_e32 v230, 0xbf7ba420, v55
	v_add_f32_e32 v80, v80, v4
	v_sub_f32_e32 v96, v216, v112
	;; [unrolled: 3-line block ×8, first 2 shown]
	v_mul_f32_e32 v215, 0x3dbcf732, v53
	v_add_f32_e32 v114, v96, v80
	v_add_f32_e32 v80, v98, v201
	v_mul_f32_e32 v229, 0xbf1a4643, v57
	v_add_f32_e32 v80, v80, v5
	v_add_f32_e32 v96, v99, v215
	;; [unrolled: 3-line block ×7, first 2 shown]
	v_mul_f32_e32 v199, 0x3f6eb680, v50
	v_mul_f32_e32 v200, 0x3f3d2fb0, v49
	v_add_f32_e32 v80, v96, v80
	v_add_f32_e32 v96, v109, v237
	v_mul_f32_e32 v213, 0x3f3d2fb0, v53
	v_mul_f32_e32 v214, 0x3dbcf732, v51
	v_add_f32_e32 v96, v96, v80
	v_sub_f32_e32 v80, v200, v92
	v_add_f32_e32 v54, v54, v199
	v_add_f32_e32 v7, v7, v5
	v_add_f32_e32 v6, v6, v4
	v_mul_f32_e32 v227, 0x3ee437d1, v57
	v_mul_f32_e32 v228, 0xbf1a4643, v55
	v_add_f32_e32 v80, v80, v4
	v_sub_f32_e32 v92, v214, v93
	v_add_f32_e32 v54, v54, v5
	v_add_f32_e32 v58, v58, v213
	v_add_f32_e32 v7, v17, v7
	v_add_f32_e32 v6, v16, v6
	v_mul_f32_e32 v241, 0x3dbcf732, v62
	v_mul_f32_e32 v242, 0xbf7ba420, v60
	v_add_f32_e32 v80, v92, v80
	v_sub_f32_e32 v92, v228, v94
	v_add_f32_e32 v54, v58, v54
	;; [unrolled: 8-line block ×5, first 2 shown]
	v_add_f32_e32 v58, v79, v238
	v_add_f32_e32 v7, v25, v7
	;; [unrolled: 1-line block ×3, first 2 shown]
	v_mul_f32_e32 v198, 0x3f6eb680, v49
	v_mul_f32_e32 v168, 0xbf7ba420, v84
	;; [unrolled: 1-line block ×3, first 2 shown]
	v_add_f32_e32 v80, v92, v80
	v_sub_f32_e32 v92, v174, v102
	v_add_f32_e32 v54, v58, v54
	v_add_f32_e32 v58, v85, v177
	;; [unrolled: 1-line block ×4, first 2 shown]
	v_mul_f32_e32 v212, 0x3f3d2fb0, v51
	v_add_f32_e32 v80, v92, v80
	v_sub_f32_e32 v92, v169, v104
	v_add_f32_e32 v54, v58, v54
	v_add_f32_e32 v58, v89, v168
	v_sub_f32_e32 v52, v198, v52
	v_add_f32_e32 v7, v9, v7
	v_add_f32_e32 v6, v8, v6
	v_fma_f32 v8, v50, s17, -v83
	v_mul_f32_e32 v226, 0x3ee437d1, v55
	v_add_f32_e32 v95, v92, v80
	v_add_f32_e32 v80, v58, v54
	v_add_f32_e32 v52, v52, v4
	v_sub_f32_e32 v54, v212, v56
	v_add_f32_e32 v7, v11, v7
	v_add_f32_e32 v6, v10, v6
	;; [unrolled: 1-line block ×3, first 2 shown]
	v_fma_f32 v8, v53, s6, -v88
	v_fmac_f32_e32 v252, 0xbf7ba420, v49
	v_mul_f32_e32 v240, 0x3dbcf732, v60
	v_add_f32_e32 v52, v54, v52
	v_sub_f32_e32 v54, v226, v61
	v_add_f32_e32 v7, v13, v7
	v_add_f32_e32 v6, v12, v6
	v_add_f32_e32 v5, v8, v5
	v_fma_f32 v8, v57, s16, -v251
	v_add_f32_e32 v4, v252, v4
	v_fmac_f32_e32 v86, 0x3f6eb680, v51
	v_mul_f32_e32 v190, 0xbe8c1d8e, v64
	v_add_f32_e32 v52, v54, v52
	v_sub_f32_e32 v54, v240, v65
	v_add_f32_e32 v7, v15, v7
	v_add_f32_e32 v6, v14, v6
	v_add_f32_e32 v5, v8, v5
	v_fma_f32 v8, v62, s7, -v108
	v_add_f32_e32 v4, v86, v4
	;; [unrolled: 9-line block ×5, first 2 shown]
	v_fmac_f32_e32 v123, 0x3ee437d1, v68
	v_add_f32_e32 v52, v54, v52
	v_sub_f32_e32 v54, v236, v87
	v_add_f32_e32 v7, v35, v7
	v_add_f32_e32 v6, v34, v6
	;; [unrolled: 1-line block ×3, first 2 shown]
	v_fma_f32 v8, v84, s9, -v149
	v_add_f32_e32 v4, v123, v4
	v_fmac_f32_e32 v255, 0xbe8c1d8e, v72
	v_add_f32_e32 v79, v54, v52
	v_add_f32_e32 v7, v37, v7
	;; [unrolled: 1-line block ×5, first 2 shown]
	v_fmac_f32_e32 v147, 0x3dbcf732, v81
	v_add_lshl_u32 v8, v59, v78, 3
	v_add_f32_e32 v4, v147, v4
	ds_write2_b64 v8, v[6:7], v[79:80] offset1:1
	ds_write2_b64 v8, v[95:96], v[114:115] offset0:2 offset1:3
	ds_write2_b64 v8, v[130:131], v[154:155] offset0:4 offset1:5
	;; [unrolled: 1-line block ×7, first 2 shown]
	ds_write_b64 v8, v[2:3] offset:128
.LBB0_7:
	s_or_b64 exec, exec, s[4:5]
	s_load_dwordx4 s[4:7], s[0:1], 0x0
	s_movk_i32 s0, 0xffef
	v_add_co_u32_e64 v4, s[0:1], s0, v75
	v_addc_co_u32_e64 v5, s[0:1], 0, -1, s[0:1]
	v_cmp_gt_u16_e64 s[0:1], 17, v75
	v_cndmask_b32_e64 v25, v5, 0, s[0:1]
	v_cndmask_b32_e64 v24, v4, v75, s[0:1]
	v_lshlrev_b64 v[4:5], 3, v[24:25]
	v_mov_b32_e32 v6, s3
	v_add_co_u32_e64 v4, s[0:1], s2, v4
	v_addc_co_u32_e64 v5, s[0:1], v6, v5, s[0:1]
	s_movk_i32 s0, 0xf1
	v_add_u16_e32 v8, 0x44, v75
	v_mul_lo_u16_sdwa v9, v8, s0 dst_sel:DWORD dst_unused:UNUSED_PAD src0_sel:BYTE_0 src1_sel:DWORD
	v_lshrrev_b16_e32 v27, 12, v9
	v_mul_lo_u16_e32 v9, 17, v27
	v_add_u16_e32 v6, 34, v75
	v_sub_u16_e32 v28, v8, v9
	v_add_u16_e32 v9, 0x66, v75
	v_mul_lo_u16_sdwa v7, v6, s0 dst_sel:DWORD dst_unused:UNUSED_PAD src0_sel:BYTE_0 src1_sel:DWORD
	v_mul_lo_u16_sdwa v10, v9, s0 dst_sel:DWORD dst_unused:UNUSED_PAD src0_sel:BYTE_0 src1_sel:DWORD
	v_lshrrev_b16_e32 v25, 12, v7
	v_lshrrev_b16_e32 v29, 12, v10
	v_mul_lo_u16_e32 v7, 17, v25
	v_mul_lo_u16_e32 v10, 17, v29
	v_sub_u16_e32 v26, v6, v7
	v_mov_b32_e32 v6, 3
	v_sub_u16_e32 v30, v9, v10
	s_waitcnt lgkmcnt(0)
	s_barrier
	v_lshlrev_b32_sdwa v7, v6, v26 dst_sel:DWORD dst_unused:UNUSED_PAD src0_sel:DWORD src1_sel:BYTE_0
	v_lshlrev_b32_sdwa v8, v6, v28 dst_sel:DWORD dst_unused:UNUSED_PAD src0_sel:DWORD src1_sel:BYTE_0
	v_lshlrev_b32_sdwa v9, v6, v30 dst_sel:DWORD dst_unused:UNUSED_PAD src0_sel:DWORD src1_sel:BYTE_0
	global_load_dwordx2 v[57:58], v[4:5], off
	global_load_dwordx2 v[53:54], v7, s[2:3]
	global_load_dwordx2 v[51:52], v8, s[2:3]
	;; [unrolled: 1-line block ×3, first 2 shown]
	v_add_u16_e32 v4, 0x88, v75
	v_mul_lo_u16_sdwa v5, v4, s0 dst_sel:DWORD dst_unused:UNUSED_PAD src0_sel:BYTE_0 src1_sel:DWORD
	v_lshrrev_b16_e32 v31, 12, v5
	v_mul_lo_u16_e32 v5, 17, v31
	v_sub_u16_e32 v32, v4, v5
	v_lshlrev_b32_sdwa v4, v6, v32 dst_sel:DWORD dst_unused:UNUSED_PAD src0_sel:DWORD src1_sel:BYTE_0
	global_load_dwordx2 v[55:56], v4, s[2:3]
	v_add_lshl_u32 v80, v59, v75, 3
	ds_read2_b64 v[4:7], v80 offset1:34
	ds_read2_b64 v[8:11], v80 offset0:136 offset1:170
	ds_read2_b64 v[12:15], v80 offset0:204 offset1:238
	;; [unrolled: 1-line block ×3, first 2 shown]
	v_cmp_lt_u16_e64 s[0:1], 16, v75
	v_add_u32_e32 v36, 0x800, v80
	ds_read2_b64 v[20:23], v36 offset0:16 offset1:50
	s_waitcnt vmcnt(0) lgkmcnt(0)
	s_barrier
	v_mul_f32_e32 v33, v11, v58
	v_mul_f32_e32 v34, v10, v58
	v_fma_f32 v10, v10, v57, -v33
	v_fmac_f32_e32 v34, v11, v57
	v_cndmask_b32_e64 v33, 0, 34, s[0:1]
	v_sub_f32_e32 v10, v4, v10
	v_sub_f32_e32 v11, v5, v34
	v_add_u32_e32 v24, v24, v33
	v_fma_f32 v4, v4, 2.0, -v10
	v_fma_f32 v5, v5, 2.0, -v11
	v_add_lshl_u32 v81, v59, v24, 3
	ds_write2_b64 v81, v[4:5], v[10:11] offset1:17
	v_mad_legacy_u16 v4, v25, 34, v26
	v_and_b32_e32 v4, 0xff, v4
	v_add_lshl_u32 v82, v59, v4, 3
	v_mul_u32_u24_e32 v4, 34, v27
	v_add_u32_sdwa v4, v4, v28 dst_sel:DWORD dst_unused:UNUSED_PAD src0_sel:DWORD src1_sel:BYTE_0
	v_add_lshl_u32 v83, v59, v4, 3
	v_mul_u32_u24_e32 v4, 34, v29
	v_add_u32_sdwa v4, v4, v30 dst_sel:DWORD dst_unused:UNUSED_PAD src0_sel:DWORD src1_sel:BYTE_0
	v_mul_f32_e32 v35, v13, v54
	v_mul_f32_e32 v37, v12, v54
	;; [unrolled: 1-line block ×6, first 2 shown]
	v_add_lshl_u32 v84, v59, v4, 3
	v_mul_u32_u24_e32 v4, 34, v31
	v_fma_f32 v12, v12, v53, -v35
	v_fmac_f32_e32 v37, v13, v53
	v_fma_f32 v14, v14, v51, -v60
	v_fmac_f32_e32 v61, v15, v51
	;; [unrolled: 2-line block ×3, first 2 shown]
	v_add_u32_sdwa v4, v4, v32 dst_sel:DWORD dst_unused:UNUSED_PAD src0_sel:DWORD src1_sel:BYTE_0
	v_sub_f32_e32 v12, v6, v12
	v_sub_f32_e32 v13, v7, v37
	;; [unrolled: 1-line block ×6, first 2 shown]
	v_add_lshl_u32 v85, v59, v4, 3
	v_mov_b32_e32 v5, s3
	v_fma_f32 v6, v6, 2.0, -v12
	v_fma_f32 v7, v7, 2.0, -v13
	;; [unrolled: 1-line block ×6, first 2 shown]
	s_movk_i32 s0, 0x48
	v_mov_b32_e32 v4, s2
	v_mul_f32_e32 v64, v23, v56
	v_mul_f32_e32 v65, v22, v56
	ds_write2_b64 v82, v[6:7], v[12:13] offset1:17
	ds_write2_b64 v83, v[16:17], v[14:15] offset1:17
	;; [unrolled: 1-line block ×3, first 2 shown]
	v_mad_u64_u32 v[20:21], s[0:1], v75, s0, v[4:5]
	v_fma_f32 v22, v22, v55, -v64
	v_fmac_f32_e32 v65, v23, v55
	v_sub_f32_e32 v22, v8, v22
	v_sub_f32_e32 v23, v9, v65
	v_fma_f32 v8, v8, 2.0, -v22
	v_fma_f32 v9, v9, 2.0, -v23
	ds_write2_b64 v85, v[8:9], v[22:23] offset1:17
	s_waitcnt lgkmcnt(0)
	s_barrier
	global_load_dwordx4 v[16:19], v[20:21], off offset:136
	global_load_dwordx4 v[12:15], v[20:21], off offset:152
	;; [unrolled: 1-line block ×4, first 2 shown]
	global_load_dwordx2 v[59:60], v[20:21], off offset:200
	ds_read2_b64 v[20:23], v80 offset1:34
	ds_read2_b64 v[24:27], v80 offset0:68 offset1:102
	ds_read2_b64 v[28:31], v80 offset0:136 offset1:170
	;; [unrolled: 1-line block ×4, first 2 shown]
	s_mov_b32 s0, 0x3f737871
	s_mov_b32 s1, 0x3f167918
	;; [unrolled: 1-line block ×4, first 2 shown]
	s_waitcnt vmcnt(4) lgkmcnt(4)
	v_mul_f32_e32 v36, v23, v17
	v_mul_f32_e32 v37, v22, v17
	s_waitcnt lgkmcnt(3)
	v_mul_f32_e32 v65, v25, v19
	s_waitcnt vmcnt(3)
	v_mul_f32_e32 v67, v27, v13
	s_waitcnt lgkmcnt(2)
	v_mul_f32_e32 v69, v29, v15
	s_waitcnt vmcnt(2) lgkmcnt(1)
	v_mul_f32_e32 v73, v33, v11
	v_mul_f32_e32 v66, v24, v19
	v_mul_f32_e32 v68, v26, v13
	v_mul_f32_e32 v72, v30, v9
	v_fma_f32 v36, v22, v16, -v36
	v_fmac_f32_e32 v37, v23, v16
	v_fma_f32 v22, v24, v18, -v65
	v_fma_f32 v23, v26, v12, -v67
	;; [unrolled: 1-line block ×4, first 2 shown]
	v_mul_f32_e32 v71, v31, v9
	s_waitcnt vmcnt(1) lgkmcnt(0)
	v_mul_f32_e32 v88, v61, v7
	v_fmac_f32_e32 v72, v31, v8
	v_add_f32_e32 v31, v24, v26
	v_mul_f32_e32 v70, v28, v15
	v_mul_f32_e32 v74, v32, v11
	;; [unrolled: 1-line block ×3, first 2 shown]
	v_fmac_f32_e32 v66, v25, v18
	v_fmac_f32_e32 v88, v62, v6
	v_fma_f32 v31, -0.5, v31, v20
	v_mul_f32_e32 v79, v35, v5
	v_mul_f32_e32 v86, v34, v5
	v_fmac_f32_e32 v70, v29, v14
	v_fmac_f32_e32 v74, v33, v10
	v_fma_f32 v28, v61, v6, -v87
	v_sub_f32_e32 v32, v66, v88
	v_mov_b32_e32 v33, v31
	v_fmac_f32_e32 v68, v27, v12
	v_fma_f32 v27, v34, v4, -v79
	v_fmac_f32_e32 v86, v35, v4
	v_fmac_f32_e32 v33, 0x3f737871, v32
	v_sub_f32_e32 v34, v70, v74
	v_sub_f32_e32 v35, v22, v24
	;; [unrolled: 1-line block ×3, first 2 shown]
	v_fmac_f32_e32 v31, 0xbf737871, v32
	v_fmac_f32_e32 v33, 0x3f167918, v34
	v_add_f32_e32 v35, v35, v61
	v_fmac_f32_e32 v31, 0xbf167918, v34
	v_fmac_f32_e32 v33, 0x3e9e377a, v35
	;; [unrolled: 1-line block ×3, first 2 shown]
	v_add_f32_e32 v35, v22, v28
	s_waitcnt vmcnt(0)
	v_mul_f32_e32 v89, v64, v60
	v_fma_f32 v35, -0.5, v35, v20
	v_mul_f32_e32 v90, v63, v60
	v_fma_f32 v29, v63, v59, -v89
	v_mov_b32_e32 v63, v35
	v_fma_f32 v25, v30, v8, -v71
	v_add_f32_e32 v30, v20, v22
	v_fmac_f32_e32 v63, 0xbf737871, v34
	v_sub_f32_e32 v20, v24, v22
	v_sub_f32_e32 v61, v26, v28
	v_fmac_f32_e32 v35, 0x3f737871, v34
	v_fmac_f32_e32 v63, 0x3f167918, v32
	v_add_f32_e32 v20, v20, v61
	v_fmac_f32_e32 v35, 0xbf167918, v32
	v_fmac_f32_e32 v63, 0x3e9e377a, v20
	;; [unrolled: 1-line block ×3, first 2 shown]
	v_add_f32_e32 v20, v21, v66
	v_add_f32_e32 v20, v20, v70
	;; [unrolled: 1-line block ×3, first 2 shown]
	v_fmac_f32_e32 v90, v64, v59
	v_add_f32_e32 v64, v20, v88
	v_add_f32_e32 v20, v70, v74
	v_fma_f32 v65, -0.5, v20, v21
	v_add_f32_e32 v30, v30, v24
	v_sub_f32_e32 v20, v22, v28
	v_mov_b32_e32 v67, v65
	v_add_f32_e32 v30, v30, v26
	v_fmac_f32_e32 v67, 0xbf737871, v20
	v_sub_f32_e32 v22, v24, v26
	v_sub_f32_e32 v24, v66, v70
	;; [unrolled: 1-line block ×3, first 2 shown]
	v_fmac_f32_e32 v65, 0x3f737871, v20
	v_fmac_f32_e32 v67, 0xbf167918, v22
	v_add_f32_e32 v24, v24, v26
	v_fmac_f32_e32 v65, 0x3f167918, v22
	v_fmac_f32_e32 v67, 0x3e9e377a, v24
	;; [unrolled: 1-line block ×3, first 2 shown]
	v_add_f32_e32 v24, v66, v88
	v_fma_f32 v69, -0.5, v24, v21
	v_mov_b32_e32 v71, v69
	v_fmac_f32_e32 v71, 0x3f737871, v22
	v_fmac_f32_e32 v69, 0xbf737871, v22
	;; [unrolled: 1-line block ×4, first 2 shown]
	v_add_f32_e32 v20, v36, v23
	v_add_f32_e32 v20, v20, v25
	;; [unrolled: 1-line block ×4, first 2 shown]
	v_sub_f32_e32 v21, v70, v66
	v_sub_f32_e32 v24, v74, v88
	v_add_f32_e32 v28, v20, v29
	v_add_f32_e32 v20, v25, v27
	;; [unrolled: 1-line block ×3, first 2 shown]
	v_fma_f32 v32, -0.5, v20, v36
	v_fmac_f32_e32 v71, 0x3e9e377a, v21
	v_fmac_f32_e32 v69, 0x3e9e377a, v21
	v_sub_f32_e32 v20, v68, v90
	v_mov_b32_e32 v21, v32
	v_fmac_f32_e32 v21, 0x3f737871, v20
	v_sub_f32_e32 v22, v72, v86
	v_sub_f32_e32 v24, v23, v25
	;; [unrolled: 1-line block ×3, first 2 shown]
	v_fmac_f32_e32 v32, 0xbf737871, v20
	v_fmac_f32_e32 v21, 0x3f167918, v22
	v_add_f32_e32 v24, v24, v26
	v_fmac_f32_e32 v32, 0xbf167918, v22
	v_fmac_f32_e32 v21, 0x3e9e377a, v24
	v_fmac_f32_e32 v32, 0x3e9e377a, v24
	v_add_f32_e32 v24, v23, v29
	v_fmac_f32_e32 v36, -0.5, v24
	v_mov_b32_e32 v34, v36
	v_fmac_f32_e32 v34, 0xbf737871, v22
	v_fmac_f32_e32 v36, 0x3f737871, v22
	;; [unrolled: 1-line block ×4, first 2 shown]
	v_add_f32_e32 v20, v37, v68
	v_add_f32_e32 v20, v20, v72
	;; [unrolled: 1-line block ×5, first 2 shown]
	v_sub_f32_e32 v24, v25, v23
	v_sub_f32_e32 v26, v27, v29
	v_fma_f32 v70, -0.5, v20, v37
	v_add_f32_e32 v24, v24, v26
	v_sub_f32_e32 v20, v23, v29
	v_mov_b32_e32 v23, v70
	v_fmac_f32_e32 v34, 0x3e9e377a, v24
	v_fmac_f32_e32 v36, 0x3e9e377a, v24
	;; [unrolled: 1-line block ×3, first 2 shown]
	v_sub_f32_e32 v22, v25, v27
	v_sub_f32_e32 v24, v68, v72
	;; [unrolled: 1-line block ×3, first 2 shown]
	v_fmac_f32_e32 v70, 0x3f737871, v20
	v_fmac_f32_e32 v23, 0xbf167918, v22
	v_add_f32_e32 v24, v24, v25
	v_fmac_f32_e32 v70, 0x3f167918, v22
	v_fmac_f32_e32 v23, 0x3e9e377a, v24
	;; [unrolled: 1-line block ×3, first 2 shown]
	v_add_f32_e32 v24, v68, v90
	v_fmac_f32_e32 v37, -0.5, v24
	v_mov_b32_e32 v25, v37
	v_fmac_f32_e32 v25, 0x3f737871, v22
	v_sub_f32_e32 v24, v72, v68
	v_sub_f32_e32 v26, v86, v90
	v_fmac_f32_e32 v37, 0xbf737871, v22
	v_fmac_f32_e32 v25, 0xbf167918, v20
	v_add_f32_e32 v24, v24, v26
	v_fmac_f32_e32 v37, 0x3f167918, v20
	v_fmac_f32_e32 v25, 0x3e9e377a, v24
	;; [unrolled: 1-line block ×3, first 2 shown]
	v_mul_f32_e32 v29, 0x3f167918, v23
	v_mul_f32_e32 v79, 0xbf737871, v34
	v_fmac_f32_e32 v29, 0x3f4f1bbd, v21
	v_mul_f32_e32 v68, 0x3f737871, v25
	v_mul_f32_e32 v24, 0x3e9e377a, v36
	;; [unrolled: 1-line block ×4, first 2 shown]
	v_fmac_f32_e32 v79, 0x3e9e377a, v25
	v_mul_f32_e32 v25, 0x3e9e377a, v37
	v_mul_f32_e32 v27, 0x3f4f1bbd, v70
	v_add_f32_e32 v61, v30, v28
	v_add_f32_e32 v20, v33, v29
	v_fmac_f32_e32 v68, 0x3e9e377a, v34
	v_fma_f32 v72, v37, s0, -v24
	v_fma_f32 v73, v70, s1, -v26
	v_fmac_f32_e32 v74, 0x3f4f1bbd, v23
	v_add_f32_e32 v23, v71, v79
	v_fma_f32 v37, v36, s2, -v25
	v_fma_f32 v70, v32, s3, -v27
	v_sub_f32_e32 v28, v30, v28
	v_sub_f32_e32 v30, v33, v29
	;; [unrolled: 1-line block ×3, first 2 shown]
	v_lshl_add_u32 v79, v75, 3, v77
	v_add_f32_e32 v22, v63, v68
	v_add_f32_e32 v24, v35, v72
	;; [unrolled: 1-line block ×7, first 2 shown]
	v_sub_f32_e32 v32, v63, v68
	v_sub_f32_e32 v34, v35, v72
	;; [unrolled: 1-line block ×7, first 2 shown]
	v_lshl_add_u32 v86, v75, 3, v77
	v_add_u32_e32 v63, 0x400, v79
	ds_write_b64 v86, v[61:62]
	ds_write2_b64 v79, v[20:21], v[22:23] offset0:34 offset1:68
	ds_write2_b64 v79, v[24:25], v[26:27] offset0:102 offset1:136
	;; [unrolled: 1-line block ×4, first 2 shown]
	ds_write_b64 v79, v[36:37] offset:2448
	s_waitcnt lgkmcnt(0)
	s_barrier
	s_and_saveexec_b64 s[0:1], vcc
	s_cbranch_execz .LBB0_9
; %bb.8:
	global_load_dwordx2 v[63:64], v76, s[12:13] offset:2720
	s_add_u32 s2, s12, 0xaa0
	s_addc_u32 s3, s13, 0
	global_load_dwordx2 v[103:104], v76, s[2:3] offset:160
	global_load_dwordx2 v[105:106], v76, s[2:3] offset:320
	;; [unrolled: 1-line block ×16, first 2 shown]
	ds_read_b64 v[65:66], v86
	v_add_u32_e32 v137, 0x800, v79
	s_waitcnt vmcnt(16) lgkmcnt(0)
	v_mul_f32_e32 v67, v66, v64
	v_mul_f32_e32 v68, v65, v64
	v_fma_f32 v67, v65, v63, -v67
	v_fmac_f32_e32 v68, v66, v63
	ds_write_b64 v86, v[67:68]
	ds_read2_b64 v[63:66], v79 offset0:20 offset1:40
	ds_read2_b64 v[67:70], v79 offset0:60 offset1:80
	;; [unrolled: 1-line block ×7, first 2 shown]
	s_waitcnt vmcnt(15) lgkmcnt(6)
	v_mul_f32_e32 v135, v64, v104
	v_mul_f32_e32 v136, v63, v104
	s_waitcnt vmcnt(14)
	v_mul_f32_e32 v138, v66, v106
	v_mul_f32_e32 v104, v65, v106
	s_waitcnt vmcnt(13) lgkmcnt(5)
	v_mul_f32_e32 v139, v68, v108
	v_mul_f32_e32 v106, v67, v108
	s_waitcnt vmcnt(12)
	v_mul_f32_e32 v140, v70, v110
	v_mul_f32_e32 v108, v69, v110
	;; [unrolled: 6-line block ×6, first 2 shown]
	v_fma_f32 v135, v63, v103, -v135
	v_fmac_f32_e32 v136, v64, v103
	v_fma_f32 v103, v65, v105, -v138
	v_fmac_f32_e32 v104, v66, v105
	;; [unrolled: 2-line block ×12, first 2 shown]
	ds_write2_b64 v79, v[135:136], v[103:104] offset0:20 offset1:40
	ds_write2_b64 v79, v[105:106], v[107:108] offset0:60 offset1:80
	;; [unrolled: 1-line block ×6, first 2 shown]
	ds_read2_b64 v[63:66], v137 offset0:44 offset1:64
	s_waitcnt vmcnt(3) lgkmcnt(7)
	v_mul_f32_e32 v149, v100, v128
	v_mul_f32_e32 v126, v99, v128
	s_waitcnt vmcnt(2)
	v_mul_f32_e32 v67, v102, v130
	v_mul_f32_e32 v68, v101, v130
	v_fma_f32 v125, v99, v127, -v149
	v_fmac_f32_e32 v126, v100, v127
	v_fma_f32 v67, v101, v129, -v67
	v_fmac_f32_e32 v68, v102, v129
	ds_write2_b64 v137, v[125:126], v[67:68] offset0:4 offset1:24
	s_waitcnt vmcnt(1) lgkmcnt(1)
	v_mul_f32_e32 v67, v64, v132
	v_mul_f32_e32 v68, v63, v132
	v_fma_f32 v67, v63, v131, -v67
	v_fmac_f32_e32 v68, v64, v131
	s_waitcnt vmcnt(0)
	v_mul_f32_e32 v63, v66, v134
	v_mul_f32_e32 v64, v65, v134
	v_fma_f32 v63, v65, v133, -v63
	v_fmac_f32_e32 v64, v66, v133
	ds_write2_b64 v137, v[67:68], v[63:64] offset0:44 offset1:64
.LBB0_9:
	s_or_b64 exec, exec, s[0:1]
	s_waitcnt lgkmcnt(0)
	s_barrier
	s_and_saveexec_b64 s[0:1], vcc
	s_cbranch_execz .LBB0_11
; %bb.10:
	ds_read_b64 v[61:62], v86
	ds_read2_b64 v[20:23], v86 offset0:20 offset1:40
	ds_read2_b64 v[24:27], v86 offset0:60 offset1:80
	;; [unrolled: 1-line block ×6, first 2 shown]
	v_add_u32_e32 v0, 0x800, v86
	ds_read2_b64 v[63:66], v0 offset0:4 offset1:24
	ds_read2_b64 v[0:3], v0 offset0:44 offset1:64
	s_waitcnt lgkmcnt(3)
	v_mov_b32_e32 v47, v38
	v_mov_b32_e32 v48, v39
	s_waitcnt lgkmcnt(2)
	v_mov_b32_e32 v45, v41
	v_mov_b32_e32 v46, v42
	;; [unrolled: 3-line block ×3, first 2 shown]
	v_mov_b32_e32 v38, v65
	v_mov_b32_e32 v39, v66
.LBB0_11:
	s_or_b64 exec, exec, s[0:1]
	s_waitcnt lgkmcnt(0)
	s_barrier
	s_and_saveexec_b64 s[0:1], vcc
	s_cbranch_execz .LBB0_13
; %bb.12:
	v_add_f32_e32 v129, v3, v21
	v_mul_f32_e32 v103, 0xbf7ba420, v129
	v_add_f32_e32 v130, v1, v23
	v_sub_f32_e32 v87, v20, v2
	v_mov_b32_e32 v63, v103
	v_mul_f32_e32 v104, 0x3f6eb680, v130
	v_fmac_f32_e32 v63, 0x3e3c28d5, v87
	v_sub_f32_e32 v88, v22, v0
	v_mov_b32_e32 v64, v104
	v_add_f32_e32 v131, v39, v25
	v_add_f32_e32 v63, v62, v63
	v_fmac_f32_e32 v64, 0xbeb8f4ab, v88
	v_mul_f32_e32 v105, 0xbf59a7d5, v131
	v_add_f32_e32 v63, v64, v63
	v_sub_f32_e32 v89, v24, v38
	v_mov_b32_e32 v64, v105
	v_add_f32_e32 v132, v42, v27
	v_fmac_f32_e32 v64, 0x3f06c442, v89
	v_mul_f32_e32 v106, 0x3f3d2fb0, v132
	v_add_f32_e32 v63, v64, v63
	v_sub_f32_e32 v90, v26, v41
	v_mov_b32_e32 v64, v106
	;; [unrolled: 6-line block ×6, first 2 shown]
	v_sub_f32_e32 v137, v21, v3
	v_fmac_f32_e32 v64, 0xbf7ee86f, v94
	v_mul_f32_e32 v111, 0xbe3c28d5, v137
	v_sub_f32_e32 v138, v23, v1
	v_add_f32_e32 v64, v64, v63
	v_add_f32_e32 v95, v2, v20
	v_mov_b32_e32 v63, v111
	v_mul_f32_e32 v112, 0x3eb8f4ab, v138
	v_fmac_f32_e32 v63, 0xbf7ba420, v95
	v_add_f32_e32 v96, v0, v22
	v_mov_b32_e32 v65, v112
	v_sub_f32_e32 v139, v25, v39
	v_add_f32_e32 v63, v61, v63
	v_fmac_f32_e32 v65, 0x3f6eb680, v96
	v_mul_f32_e32 v113, 0xbf06c442, v139
	v_add_f32_e32 v63, v65, v63
	v_add_f32_e32 v97, v38, v24
	v_mov_b32_e32 v65, v113
	v_sub_f32_e32 v140, v27, v42
	v_fmac_f32_e32 v65, 0xbf59a7d5, v97
	v_mul_f32_e32 v114, 0x3f2c7751, v140
	v_add_f32_e32 v63, v65, v63
	v_add_f32_e32 v98, v41, v26
	v_mov_b32_e32 v65, v114
	v_sub_f32_e32 v141, v29, v44
	;; [unrolled: 6-line block ×5, first 2 shown]
	v_fmac_f32_e32 v65, 0xbe8c1d8e, v101
	v_mul_f32_e32 v118, 0x3f7ee86f, v144
	v_add_f32_e32 v63, v65, v63
	v_add_f32_e32 v102, v36, v34
	v_mov_b32_e32 v65, v118
	v_fmac_f32_e32 v65, 0x3dbcf732, v102
	v_mul_f32_e32 v119, 0xbf59a7d5, v129
	v_add_f32_e32 v63, v65, v63
	v_mov_b32_e32 v65, v119
	v_mul_f32_e32 v120, 0x3ee437d1, v130
	v_fmac_f32_e32 v65, 0x3f06c442, v87
	v_mov_b32_e32 v66, v120
	v_add_f32_e32 v65, v62, v65
	v_fmac_f32_e32 v66, 0xbf65296c, v88
	v_mul_f32_e32 v121, 0x3dbcf732, v131
	v_add_f32_e32 v65, v66, v65
	v_mov_b32_e32 v66, v121
	v_fmac_f32_e32 v66, 0x3f7ee86f, v89
	v_mul_f32_e32 v122, 0xbf1a4643, v132
	v_add_f32_e32 v65, v66, v65
	v_mov_b32_e32 v66, v122
	v_fmac_f32_e32 v66, 0xbf4c4adb, v90
	v_mul_f32_e32 v123, 0x3f6eb680, v133
	v_add_f32_e32 v65, v66, v65
	v_mov_b32_e32 v66, v123
	v_fmac_f32_e32 v66, 0x3eb8f4ab, v91
	v_mul_f32_e32 v124, 0xbf7ba420, v134
	v_add_f32_e32 v65, v66, v65
	v_mov_b32_e32 v66, v124
	v_fmac_f32_e32 v66, 0x3e3c28d5, v92
	v_mul_f32_e32 v125, 0x3f3d2fb0, v135
	v_add_f32_e32 v65, v66, v65
	v_mov_b32_e32 v66, v125
	v_fmac_f32_e32 v66, 0xbf2c7751, v93
	v_mul_f32_e32 v126, 0xbe8c1d8e, v136
	v_add_f32_e32 v65, v66, v65
	v_mov_b32_e32 v66, v126
	v_fmac_f32_e32 v66, 0x3f763a35, v94
	v_mul_f32_e32 v145, 0xbf06c442, v137
	v_add_f32_e32 v66, v66, v65
	v_mov_b32_e32 v65, v145
	v_mul_f32_e32 v146, 0x3f65296c, v138
	v_fmac_f32_e32 v65, 0xbf59a7d5, v95
	v_mov_b32_e32 v67, v146
	v_add_f32_e32 v65, v61, v65
	v_fmac_f32_e32 v67, 0x3ee437d1, v96
	v_mul_f32_e32 v147, 0xbf7ee86f, v139
	v_add_f32_e32 v65, v67, v65
	v_mov_b32_e32 v67, v147
	v_fmac_f32_e32 v67, 0x3dbcf732, v97
	v_mul_f32_e32 v148, 0x3f4c4adb, v140
	v_add_f32_e32 v65, v67, v65
	v_mov_b32_e32 v67, v148
	v_fmac_f32_e32 v67, 0xbf1a4643, v98
	v_mul_f32_e32 v149, 0xbeb8f4ab, v141
	v_add_f32_e32 v65, v67, v65
	v_mov_b32_e32 v67, v149
	v_fmac_f32_e32 v67, 0x3f6eb680, v99
	v_mul_f32_e32 v150, 0xbe3c28d5, v142
	v_add_f32_e32 v65, v67, v65
	v_mov_b32_e32 v67, v150
	v_fmac_f32_e32 v67, 0xbf7ba420, v100
	v_mul_f32_e32 v151, 0x3f2c7751, v143
	v_add_f32_e32 v65, v67, v65
	v_mov_b32_e32 v67, v151
	v_fmac_f32_e32 v67, 0x3f3d2fb0, v101
	v_mul_f32_e32 v152, 0xbf763a35, v144
	;; [unrolled: 32-line block ×4, first 2 shown]
	v_add_f32_e32 v67, v69, v67
	v_mov_b32_e32 v69, v168
	v_fmac_f32_e32 v69, 0x3ee437d1, v102
	v_mul_f32_e32 v169, 0xbe8c1d8e, v129
	v_add_f32_e32 v67, v69, v67
	v_mov_b32_e32 v69, v169
	v_mul_f32_e32 v170, 0xbf59a7d5, v130
	v_fmac_f32_e32 v69, 0x3f763a35, v87
	v_mov_b32_e32 v70, v170
	v_add_f32_e32 v69, v62, v69
	v_fmac_f32_e32 v70, 0xbf06c442, v88
	v_mul_f32_e32 v171, 0x3f3d2fb0, v131
	v_add_f32_e32 v69, v70, v69
	v_mov_b32_e32 v70, v171
	v_fmac_f32_e32 v70, 0xbf2c7751, v89
	v_mul_f32_e32 v172, 0x3ee437d1, v132
	v_add_f32_e32 v69, v70, v69
	v_mov_b32_e32 v70, v172
	;; [unrolled: 4-line block ×3, first 2 shown]
	v_add_f32_e32 v21, v21, v62
	v_fmac_f32_e32 v70, 0x3e3c28d5, v91
	v_mul_f32_e32 v174, 0x3dbcf732, v134
	v_add_f32_e32 v21, v23, v21
	v_add_f32_e32 v69, v70, v69
	v_mov_b32_e32 v70, v174
	v_add_f32_e32 v21, v25, v21
	v_fmac_f32_e32 v70, 0xbf7ee86f, v92
	v_mul_f32_e32 v175, 0x3f6eb680, v135
	v_add_f32_e32 v21, v27, v21
	v_add_f32_e32 v69, v70, v69
	v_mov_b32_e32 v70, v175
	v_add_f32_e32 v21, v29, v21
	v_fmac_f32_e32 v70, 0x3eb8f4ab, v93
	v_mul_f32_e32 v176, 0xbf1a4643, v136
	v_add_f32_e32 v21, v31, v21
	v_add_f32_e32 v69, v70, v69
	v_mov_b32_e32 v70, v176
	v_add_f32_e32 v21, v33, v21
	v_fmac_f32_e32 v70, 0x3f4c4adb, v94
	v_mul_f32_e32 v177, 0xbf763a35, v137
	v_add_f32_e32 v21, v35, v21
	v_add_f32_e32 v70, v70, v69
	v_mov_b32_e32 v69, v177
	v_mul_f32_e32 v178, 0x3f06c442, v138
	v_add_f32_e32 v21, v37, v21
	v_fmac_f32_e32 v69, 0xbe8c1d8e, v95
	v_mov_b32_e32 v71, v178
	v_add_f32_e32 v21, v48, v21
	v_add_f32_e32 v69, v61, v69
	v_fmac_f32_e32 v71, 0xbf59a7d5, v96
	v_mul_f32_e32 v179, 0x3f2c7751, v139
	v_add_f32_e32 v21, v46, v21
	v_add_f32_e32 v69, v71, v69
	v_mov_b32_e32 v71, v179
	v_add_f32_e32 v21, v44, v21
	v_fmac_f32_e32 v71, 0x3f3d2fb0, v97
	v_mul_f32_e32 v180, 0xbf65296c, v140
	v_add_f32_e32 v21, v42, v21
	v_add_f32_e32 v69, v71, v69
	v_mov_b32_e32 v71, v180
	;; [unrolled: 6-line block ×3, first 2 shown]
	v_add_f32_e32 v1, v3, v1
	v_add_f32_e32 v3, v20, v61
	v_fmac_f32_e32 v71, 0xbf7ba420, v99
	v_mul_f32_e32 v182, 0x3f7ee86f, v142
	v_add_f32_e32 v3, v22, v3
	v_add_f32_e32 v69, v71, v69
	v_mov_b32_e32 v71, v182
	v_add_f32_e32 v3, v24, v3
	v_fmac_f32_e32 v71, 0x3dbcf732, v100
	v_mul_f32_e32 v183, 0xbeb8f4ab, v143
	v_add_f32_e32 v3, v26, v3
	v_add_f32_e32 v69, v71, v69
	v_mov_b32_e32 v71, v183
	;; [unrolled: 6-line block ×4, first 2 shown]
	v_mul_f32_e32 v186, 0xbf7ba420, v130
	v_add_f32_e32 v3, v36, v3
	v_fmac_f32_e32 v71, 0x3f7ee86f, v87
	v_mov_b32_e32 v72, v186
	v_add_f32_e32 v3, v47, v3
	v_add_f32_e32 v71, v62, v71
	v_fmac_f32_e32 v72, 0x3e3c28d5, v88
	v_mul_f32_e32 v187, 0xbe8c1d8e, v131
	v_add_f32_e32 v3, v45, v3
	v_add_f32_e32 v71, v72, v71
	v_mov_b32_e32 v72, v187
	v_add_f32_e32 v3, v43, v3
	v_fmac_f32_e32 v72, 0xbf763a35, v89
	v_mul_f32_e32 v188, 0x3f6eb680, v132
	v_add_f32_e32 v3, v41, v3
	v_add_f32_e32 v71, v72, v71
	v_mov_b32_e32 v72, v188
	v_add_f32_e32 v3, v38, v3
	v_fmac_f32_e32 v72, 0xbeb8f4ab, v90
	v_mul_f32_e32 v189, 0x3ee437d1, v133
	v_add_f32_e32 v0, v0, v3
	v_fmac_f32_e32 v103, 0xbe3c28d5, v87
	v_add_f32_e32 v71, v72, v71
	v_mov_b32_e32 v72, v189
	v_add_f32_e32 v0, v2, v0
	v_add_f32_e32 v2, v62, v103
	v_fmac_f32_e32 v104, 0x3eb8f4ab, v88
	v_fmac_f32_e32 v72, 0x3f65296c, v91
	v_mul_f32_e32 v190, 0xbf59a7d5, v134
	v_add_f32_e32 v2, v104, v2
	v_fmac_f32_e32 v105, 0xbf06c442, v89
	v_add_f32_e32 v71, v72, v71
	v_mov_b32_e32 v72, v190
	v_add_f32_e32 v2, v105, v2
	v_fmac_f32_e32 v106, 0x3f2c7751, v90
	v_fmac_f32_e32 v72, 0x3f06c442, v92
	v_mul_f32_e32 v191, 0xbf1a4643, v135
	v_add_f32_e32 v2, v106, v2
	v_fmac_f32_e32 v107, 0xbf4c4adb, v91
	v_add_f32_e32 v71, v72, v71
	v_mov_b32_e32 v72, v191
	v_add_f32_e32 v2, v107, v2
	v_fmac_f32_e32 v108, 0x3f65296c, v92
	v_fmac_f32_e32 v72, 0xbf4c4adb, v93
	v_mul_f32_e32 v192, 0x3f3d2fb0, v136
	v_add_f32_e32 v2, v108, v2
	v_fmac_f32_e32 v109, 0xbf763a35, v93
	s_mov_b32 s2, 0xbf7ba420
	v_add_f32_e32 v71, v72, v71
	v_mov_b32_e32 v72, v192
	v_add_f32_e32 v2, v109, v2
	v_fmac_f32_e32 v110, 0x3f7ee86f, v94
	s_mov_b32 s8, 0x3f6eb680
	v_fmac_f32_e32 v72, 0xbf2c7751, v94
	v_mul_f32_e32 v193, 0xbf7ee86f, v137
	v_add_f32_e32 v3, v110, v2
	v_fma_f32 v2, v95, s2, -v111
	s_mov_b32 s3, 0xbf59a7d5
	v_add_f32_e32 v72, v72, v71
	v_mov_b32_e32 v71, v193
	v_mul_f32_e32 v194, 0xbe3c28d5, v138
	v_add_f32_e32 v2, v61, v2
	v_fma_f32 v20, v96, s8, -v112
	s_mov_b32 s10, 0x3f3d2fb0
	v_fmac_f32_e32 v71, 0x3dbcf732, v95
	v_mov_b32_e32 v73, v194
	v_add_f32_e32 v2, v20, v2
	v_fma_f32 v20, v97, s3, -v113
	s_mov_b32 s9, 0xbf1a4643
	v_add_f32_e32 v71, v61, v71
	v_fmac_f32_e32 v73, 0xbf7ba420, v96
	v_mul_f32_e32 v195, 0x3f763a35, v139
	v_add_f32_e32 v2, v20, v2
	v_fma_f32 v20, v98, s10, -v114
	s_mov_b32 s11, 0x3ee437d1
	v_add_f32_e32 v71, v73, v71
	v_mov_b32_e32 v73, v195
	v_add_f32_e32 v2, v20, v2
	v_fma_f32 v20, v99, s9, -v115
	s_mov_b32 s16, 0xbe8c1d8e
	v_fmac_f32_e32 v73, 0xbe8c1d8e, v97
	v_mul_f32_e32 v196, 0x3eb8f4ab, v140
	v_add_f32_e32 v2, v20, v2
	v_fma_f32 v20, v100, s11, -v116
	s_mov_b32 s17, 0x3dbcf732
	v_add_f32_e32 v71, v73, v71
	v_mov_b32_e32 v73, v196
	v_add_f32_e32 v2, v20, v2
	v_fma_f32 v20, v101, s16, -v117
	v_fmac_f32_e32 v73, 0x3f6eb680, v98
	v_mul_f32_e32 v197, 0xbf65296c, v141
	v_add_f32_e32 v2, v20, v2
	v_fma_f32 v20, v102, s17, -v118
	v_fmac_f32_e32 v119, 0xbf06c442, v87
	v_add_f32_e32 v71, v73, v71
	v_mov_b32_e32 v73, v197
	v_add_f32_e32 v2, v20, v2
	v_add_f32_e32 v20, v62, v119
	v_fmac_f32_e32 v120, 0x3f65296c, v88
	v_fmac_f32_e32 v73, 0x3ee437d1, v99
	v_mul_f32_e32 v198, 0xbf06c442, v142
	v_add_f32_e32 v20, v120, v20
	v_fmac_f32_e32 v121, 0xbf7ee86f, v89
	v_add_f32_e32 v71, v73, v71
	v_mov_b32_e32 v73, v198
	v_add_f32_e32 v20, v121, v20
	v_fmac_f32_e32 v122, 0x3f4c4adb, v90
	v_fmac_f32_e32 v73, 0xbf59a7d5, v100
	v_mul_f32_e32 v199, 0x3f4c4adb, v143
	v_add_f32_e32 v20, v122, v20
	v_fmac_f32_e32 v123, 0xbeb8f4ab, v91
	v_add_f32_e32 v71, v73, v71
	v_mov_b32_e32 v73, v199
	v_add_f32_e32 v20, v123, v20
	v_fmac_f32_e32 v124, 0xbe3c28d5, v92
	v_fmac_f32_e32 v73, 0xbf1a4643, v101
	v_mul_f32_e32 v200, 0x3f2c7751, v144
	v_add_f32_e32 v20, v124, v20
	v_fmac_f32_e32 v125, 0x3f2c7751, v93
	v_add_f32_e32 v71, v73, v71
	v_mov_b32_e32 v73, v200
	v_add_f32_e32 v20, v125, v20
	v_fmac_f32_e32 v126, 0xbf763a35, v94
	v_fmac_f32_e32 v73, 0x3f3d2fb0, v102
	v_mul_f32_e32 v201, 0x3ee437d1, v129
	v_add_f32_e32 v21, v126, v20
	v_fma_f32 v20, v95, s3, -v145
	v_add_f32_e32 v71, v73, v71
	v_mov_b32_e32 v73, v201
	v_mul_f32_e32 v202, 0xbf1a4643, v130
	v_add_f32_e32 v20, v61, v20
	v_fma_f32 v22, v96, s11, -v146
	v_fmac_f32_e32 v73, 0x3f65296c, v87
	v_mov_b32_e32 v74, v202
	v_add_f32_e32 v20, v22, v20
	v_fma_f32 v22, v97, s17, -v147
	v_add_f32_e32 v73, v62, v73
	v_fmac_f32_e32 v74, 0x3f4c4adb, v88
	v_mul_f32_e32 v203, 0xbf7ba420, v131
	v_add_f32_e32 v20, v22, v20
	v_fma_f32 v22, v98, s9, -v148
	v_add_f32_e32 v73, v74, v73
	v_mov_b32_e32 v74, v203
	v_add_f32_e32 v20, v22, v20
	v_fma_f32 v22, v99, s8, -v149
	v_fmac_f32_e32 v74, 0xbe3c28d5, v89
	v_mul_f32_e32 v204, 0xbe8c1d8e, v132
	v_add_f32_e32 v20, v22, v20
	v_fma_f32 v22, v100, s2, -v150
	v_add_f32_e32 v73, v74, v73
	v_mov_b32_e32 v74, v204
	v_add_f32_e32 v20, v22, v20
	v_fma_f32 v22, v101, s10, -v151
	v_fmac_f32_e32 v74, 0xbf763a35, v90
	v_mul_f32_e32 v205, 0x3f3d2fb0, v133
	v_add_f32_e32 v20, v22, v20
	v_fma_f32 v22, v102, s16, -v152
	v_fmac_f32_e32 v153, 0xbf4c4adb, v87
	v_add_f32_e32 v73, v74, v73
	v_mov_b32_e32 v74, v205
	v_add_f32_e32 v20, v22, v20
	v_add_f32_e32 v22, v62, v153
	v_fmac_f32_e32 v154, 0x3f763a35, v88
	v_fmac_f32_e32 v74, 0xbf2c7751, v91
	v_mul_f32_e32 v206, 0x3f6eb680, v134
	v_add_f32_e32 v22, v154, v22
	v_fmac_f32_e32 v155, 0xbeb8f4ab, v89
	v_add_f32_e32 v73, v74, v73
	v_mov_b32_e32 v74, v206
	v_add_f32_e32 v22, v155, v22
	v_fmac_f32_e32 v156, 0xbf06c442, v90
	v_fmac_f32_e32 v74, 0x3eb8f4ab, v92
	v_mul_f32_e32 v207, 0x3dbcf732, v135
	v_add_f32_e32 v22, v156, v22
	v_fmac_f32_e32 v157, 0x3f7ee86f, v91
	v_add_f32_e32 v73, v74, v73
	v_mov_b32_e32 v74, v207
	v_add_f32_e32 v22, v157, v22
	v_fmac_f32_e32 v158, 0xbf2c7751, v92
	v_fmac_f32_e32 v74, 0x3f7ee86f, v93
	v_mul_f32_e32 v208, 0xbf59a7d5, v136
	v_add_f32_e32 v22, v158, v22
	v_fmac_f32_e32 v159, 0xbe3c28d5, v93
	v_add_f32_e32 v73, v74, v73
	v_mov_b32_e32 v74, v208
	v_add_f32_e32 v22, v159, v22
	v_fmac_f32_e32 v160, 0x3f65296c, v94
	v_fmac_f32_e32 v74, 0x3f06c442, v94
	v_mul_f32_e32 v209, 0xbf65296c, v137
	v_add_f32_e32 v23, v160, v22
	v_fma_f32 v22, v95, s9, -v161
	v_add_f32_e32 v74, v74, v73
	v_mov_b32_e32 v73, v209
	v_mul_f32_e32 v210, 0xbf4c4adb, v138
	v_add_f32_e32 v22, v61, v22
	v_fma_f32 v24, v96, s16, -v162
	v_fmac_f32_e32 v73, 0x3ee437d1, v95
	v_mov_b32_e32 v127, v210
	v_add_f32_e32 v22, v24, v22
	v_fma_f32 v24, v97, s8, -v163
	v_add_f32_e32 v73, v61, v73
	v_fmac_f32_e32 v127, 0xbf1a4643, v96
	v_mul_f32_e32 v211, 0x3e3c28d5, v139
	v_add_f32_e32 v22, v24, v22
	v_fma_f32 v24, v98, s3, -v164
	v_add_f32_e32 v73, v127, v73
	v_mov_b32_e32 v127, v211
	v_add_f32_e32 v22, v24, v22
	v_fma_f32 v24, v99, s17, -v165
	v_fmac_f32_e32 v127, 0xbf7ba420, v97
	v_mul_f32_e32 v212, 0x3f763a35, v140
	v_add_f32_e32 v22, v24, v22
	v_fma_f32 v24, v100, s10, -v166
	;; [unrolled: 64-line block ×3, first 2 shown]
	v_add_f32_e32 v127, v128, v127
	v_mov_b32_e32 v128, v220
	v_add_f32_e32 v24, v26, v24
	v_fma_f32 v26, v101, s8, -v183
	v_fmac_f32_e32 v128, 0x3e3c28d5, v90
	v_mul_f32_e32 v221, 0xbf59a7d5, v133
	v_add_f32_e32 v24, v26, v24
	v_fma_f32 v26, v102, s9, -v184
	v_fmac_f32_e32 v185, 0xbf7ee86f, v87
	v_add_f32_e32 v127, v128, v127
	v_mov_b32_e32 v128, v221
	v_add_f32_e32 v24, v26, v24
	v_add_f32_e32 v26, v62, v185
	v_fmac_f32_e32 v186, 0xbe3c28d5, v88
	v_fmac_f32_e32 v128, 0xbf06c442, v91
	v_mul_f32_e32 v222, 0xbe8c1d8e, v134
	v_add_f32_e32 v26, v186, v26
	v_fmac_f32_e32 v187, 0x3f763a35, v89
	v_add_f32_e32 v127, v128, v127
	v_mov_b32_e32 v128, v222
	v_add_f32_e32 v26, v187, v26
	v_fmac_f32_e32 v188, 0x3eb8f4ab, v90
	v_fmac_f32_e32 v128, 0xbf763a35, v92
	v_mul_f32_e32 v223, 0x3ee437d1, v135
	v_add_f32_e32 v26, v188, v26
	v_fmac_f32_e32 v189, 0xbf65296c, v91
	v_add_f32_e32 v127, v128, v127
	v_mov_b32_e32 v128, v223
	;; [unrolled: 8-line block ×3, first 2 shown]
	v_add_f32_e32 v26, v191, v26
	v_fmac_f32_e32 v192, 0x3f2c7751, v94
	v_fmac_f32_e32 v128, 0xbeb8f4ab, v94
	v_mul_f32_e32 v225, 0xbf2c7751, v137
	v_add_f32_e32 v27, v192, v26
	v_fma_f32 v26, v95, s17, -v193
	v_add_f32_e32 v128, v128, v127
	v_mov_b32_e32 v127, v225
	v_mul_f32_e32 v226, 0xbf7ee86f, v138
	v_add_f32_e32 v26, v61, v26
	v_fma_f32 v28, v96, s2, -v194
	v_fmac_f32_e32 v127, 0x3f3d2fb0, v95
	v_mov_b32_e32 v227, v226
	v_add_f32_e32 v26, v28, v26
	v_fma_f32 v28, v97, s16, -v195
	v_add_f32_e32 v127, v61, v127
	v_fmac_f32_e32 v227, 0x3dbcf732, v96
	v_add_f32_e32 v26, v28, v26
	v_fma_f32 v28, v98, s8, -v196
	v_add_f32_e32 v127, v227, v127
	v_mul_f32_e32 v227, 0xbf4c4adb, v139
	v_add_f32_e32 v26, v28, v26
	v_fma_f32 v28, v99, s11, -v197
	v_mov_b32_e32 v228, v227
	v_add_f32_e32 v26, v28, v26
	v_fma_f32 v28, v100, s3, -v198
	v_fmac_f32_e32 v228, 0xbf1a4643, v97
	v_add_f32_e32 v26, v28, v26
	v_fma_f32 v28, v101, s9, -v199
	v_add_f32_e32 v127, v228, v127
	v_mul_f32_e32 v228, 0xbe3c28d5, v140
	v_add_f32_e32 v26, v28, v26
	v_fma_f32 v28, v102, s10, -v200
	v_fmac_f32_e32 v201, 0xbf65296c, v87
	v_mov_b32_e32 v229, v228
	v_add_f32_e32 v26, v28, v26
	v_add_f32_e32 v28, v62, v201
	v_fmac_f32_e32 v202, 0xbf4c4adb, v88
	v_fmac_f32_e32 v229, 0xbf7ba420, v98
	v_add_f32_e32 v28, v202, v28
	v_fmac_f32_e32 v203, 0x3e3c28d5, v89
	v_add_f32_e32 v127, v229, v127
	v_mul_f32_e32 v229, 0x3f06c442, v141
	v_add_f32_e32 v28, v203, v28
	v_fmac_f32_e32 v204, 0x3f763a35, v90
	v_mov_b32_e32 v230, v229
	v_add_f32_e32 v28, v204, v28
	v_fmac_f32_e32 v205, 0x3f2c7751, v91
	v_fmac_f32_e32 v230, 0xbf59a7d5, v99
	v_add_f32_e32 v28, v205, v28
	v_fmac_f32_e32 v206, 0xbeb8f4ab, v92
	v_add_f32_e32 v127, v230, v127
	v_mul_f32_e32 v230, 0x3f763a35, v142
	v_add_f32_e32 v28, v206, v28
	v_fmac_f32_e32 v207, 0xbf7ee86f, v93
	v_mov_b32_e32 v231, v230
	v_add_f32_e32 v28, v207, v28
	v_fmac_f32_e32 v208, 0xbf06c442, v94
	v_fmac_f32_e32 v231, 0xbe8c1d8e, v100
	v_add_f32_e32 v29, v208, v28
	v_fma_f32 v28, v95, s11, -v209
	v_add_f32_e32 v127, v231, v127
	v_mul_f32_e32 v231, 0x3f65296c, v143
	v_add_f32_e32 v28, v61, v28
	v_fma_f32 v30, v96, s9, -v210
	v_mov_b32_e32 v232, v231
	v_add_f32_e32 v28, v30, v28
	v_fma_f32 v30, v97, s2, -v211
	v_fmac_f32_e32 v232, 0x3ee437d1, v101
	v_add_f32_e32 v28, v30, v28
	v_fma_f32 v30, v98, s16, -v212
	v_add_f32_e32 v127, v232, v127
	v_mul_f32_e32 v232, 0x3eb8f4ab, v144
	v_add_f32_e32 v28, v30, v28
	v_fma_f32 v30, v99, s10, -v213
	v_mov_b32_e32 v233, v232
	v_add_f32_e32 v28, v30, v28
	v_fma_f32 v30, v100, s8, -v214
	v_fmac_f32_e32 v233, 0x3f6eb680, v102
	v_add_f32_e32 v28, v30, v28
	v_fma_f32 v30, v101, s17, -v215
	v_add_f32_e32 v127, v233, v127
	v_mul_f32_e32 v233, 0x3f6eb680, v129
	v_add_f32_e32 v28, v30, v28
	v_fma_f32 v30, v102, s3, -v216
	v_fmac_f32_e32 v217, 0xbf2c7751, v87
	v_mov_b32_e32 v129, v233
	v_mul_f32_e32 v234, 0x3f3d2fb0, v130
	v_add_f32_e32 v28, v30, v28
	v_add_f32_e32 v30, v62, v217
	v_fmac_f32_e32 v218, 0xbf7ee86f, v88
	v_fmac_f32_e32 v129, 0x3eb8f4ab, v87
	v_mov_b32_e32 v130, v234
	v_add_f32_e32 v30, v218, v30
	v_fmac_f32_e32 v219, 0xbf4c4adb, v89
	v_add_f32_e32 v129, v62, v129
	v_fmac_f32_e32 v130, 0x3f2c7751, v88
	v_mul_f32_e32 v131, 0x3ee437d1, v131
	v_add_f32_e32 v30, v219, v30
	v_fmac_f32_e32 v220, 0xbe3c28d5, v90
	v_add_f32_e32 v129, v130, v129
	v_mov_b32_e32 v130, v131
	v_add_f32_e32 v30, v220, v30
	v_fmac_f32_e32 v221, 0x3f06c442, v91
	v_fmac_f32_e32 v130, 0x3f65296c, v89
	v_mul_f32_e32 v132, 0x3dbcf732, v132
	v_add_f32_e32 v30, v221, v30
	v_fmac_f32_e32 v222, 0x3f763a35, v92
	v_add_f32_e32 v129, v130, v129
	v_mov_b32_e32 v130, v132
	v_add_f32_e32 v30, v222, v30
	v_fmac_f32_e32 v223, 0x3f65296c, v93
	v_fmac_f32_e32 v130, 0x3f7ee86f, v90
	v_mul_f32_e32 v133, 0xbe8c1d8e, v133
	v_add_f32_e32 v30, v223, v30
	v_fmac_f32_e32 v224, 0x3eb8f4ab, v94
	v_add_f32_e32 v129, v130, v129
	v_mov_b32_e32 v130, v133
	v_add_f32_e32 v31, v224, v30
	v_fma_f32 v30, v95, s10, -v225
	v_fmac_f32_e32 v130, 0x3f763a35, v91
	v_mul_f32_e32 v134, 0xbf1a4643, v134
	v_add_f32_e32 v30, v61, v30
	v_fma_f32 v32, v96, s17, -v226
	v_add_f32_e32 v129, v130, v129
	v_mov_b32_e32 v130, v134
	v_add_f32_e32 v30, v32, v30
	v_fma_f32 v32, v97, s9, -v227
	v_fmac_f32_e32 v130, 0x3f4c4adb, v92
	v_mul_f32_e32 v135, 0xbf59a7d5, v135
	v_add_f32_e32 v30, v32, v30
	v_fma_f32 v32, v98, s2, -v228
	;; [unrolled: 8-line block ×4, first 2 shown]
	v_fmac_f32_e32 v233, 0xbeb8f4ab, v87
	v_add_f32_e32 v130, v130, v129
	v_mov_b32_e32 v129, v137
	v_mul_f32_e32 v138, 0xbf2c7751, v138
	v_add_f32_e32 v30, v32, v30
	v_add_f32_e32 v32, v62, v233
	v_fmac_f32_e32 v234, 0xbf2c7751, v88
	v_fmac_f32_e32 v129, 0x3f6eb680, v95
	v_mov_b32_e32 v235, v138
	v_add_f32_e32 v32, v234, v32
	v_fmac_f32_e32 v131, 0xbf65296c, v89
	v_add_f32_e32 v129, v61, v129
	v_fmac_f32_e32 v235, 0x3f3d2fb0, v96
	v_mul_f32_e32 v139, 0xbf65296c, v139
	v_add_f32_e32 v32, v131, v32
	v_fmac_f32_e32 v132, 0xbf7ee86f, v90
	v_add_f32_e32 v129, v235, v129
	v_mov_b32_e32 v235, v139
	v_add_f32_e32 v32, v132, v32
	v_fmac_f32_e32 v133, 0xbf763a35, v91
	v_fmac_f32_e32 v235, 0x3ee437d1, v97
	v_mul_f32_e32 v140, 0xbf7ee86f, v140
	v_add_f32_e32 v32, v133, v32
	v_fmac_f32_e32 v134, 0xbf4c4adb, v92
	v_add_f32_e32 v129, v235, v129
	v_mov_b32_e32 v235, v140
	v_add_f32_e32 v32, v134, v32
	v_fmac_f32_e32 v135, 0xbf06c442, v93
	v_fmac_f32_e32 v235, 0x3dbcf732, v98
	v_mul_f32_e32 v141, 0xbf763a35, v141
	v_add_f32_e32 v32, v135, v32
	v_fmac_f32_e32 v136, 0xbe3c28d5, v94
	v_add_f32_e32 v129, v235, v129
	v_mov_b32_e32 v235, v141
	v_add_f32_e32 v33, v136, v32
	v_fma_f32 v32, v95, s8, -v137
	v_fmac_f32_e32 v235, 0xbe8c1d8e, v99
	v_mul_f32_e32 v142, 0xbf4c4adb, v142
	v_add_f32_e32 v32, v61, v32
	v_fma_f32 v34, v96, s10, -v138
	v_add_f32_e32 v129, v235, v129
	v_mov_b32_e32 v235, v142
	v_add_f32_e32 v32, v34, v32
	v_fma_f32 v34, v97, s11, -v139
	v_fmac_f32_e32 v235, 0xbf1a4643, v100
	v_mul_f32_e32 v143, 0xbf06c442, v143
	v_add_f32_e32 v32, v34, v32
	v_fma_f32 v34, v98, s17, -v140
	;; [unrolled: 8-line block ×3, first 2 shown]
	v_add_f32_e32 v129, v235, v129
	v_mov_b32_e32 v235, v144
	v_add_f32_e32 v32, v34, v32
	v_fma_f32 v34, v101, s3, -v143
	v_fmac_f32_e32 v235, 0xbf7ba420, v102
	v_add_f32_e32 v32, v34, v32
	v_fma_f32 v34, v102, s2, -v144
	v_add_f32_e32 v129, v235, v129
	v_add_f32_e32 v32, v34, v32
	v_lshl_add_u32 v34, v78, 3, v77
	ds_write2_b64 v34, v[0:1], v[129:130] offset1:1
	ds_write2_b64 v34, v[127:128], v[73:74] offset0:2 offset1:3
	ds_write2_b64 v34, v[71:72], v[69:70] offset0:4 offset1:5
	;; [unrolled: 1-line block ×7, first 2 shown]
	ds_write_b64 v34, v[32:33] offset:128
.LBB0_13:
	s_or_b64 exec, exec, s[0:1]
	s_waitcnt lgkmcnt(0)
	s_barrier
	ds_read2_b64 v[0:3], v80 offset1:34
	ds_read2_b64 v[20:23], v80 offset0:136 offset1:170
	ds_read2_b64 v[24:27], v80 offset0:204 offset1:238
	;; [unrolled: 1-line block ×3, first 2 shown]
	v_add_u32_e32 v36, 0x800, v80
	ds_read2_b64 v[32:35], v36 offset0:16 offset1:50
	s_waitcnt lgkmcnt(3)
	v_mul_f32_e32 v37, v58, v23
	v_fmac_f32_e32 v37, v57, v22
	v_mul_f32_e32 v22, v58, v22
	v_fma_f32 v23, v57, v23, -v22
	s_waitcnt lgkmcnt(2)
	v_mul_f32_e32 v22, v54, v24
	v_mul_f32_e32 v38, v54, v25
	v_fma_f32 v25, v53, v25, -v22
	v_mul_f32_e32 v22, v52, v26
	v_mul_f32_e32 v39, v52, v27
	v_fma_f32 v27, v51, v27, -v22
	s_waitcnt lgkmcnt(0)
	v_mul_f32_e32 v22, v50, v32
	v_mul_f32_e32 v41, v50, v33
	v_fma_f32 v33, v49, v33, -v22
	v_mul_f32_e32 v42, v56, v35
	v_mul_f32_e32 v22, v56, v34
	v_fmac_f32_e32 v38, v53, v24
	v_fmac_f32_e32 v39, v51, v26
	;; [unrolled: 1-line block ×4, first 2 shown]
	v_fma_f32 v35, v55, v35, -v22
	v_sub_f32_e32 v22, v0, v37
	v_sub_f32_e32 v23, v1, v23
	;; [unrolled: 1-line block ×10, first 2 shown]
	v_fma_f32 v0, v0, 2.0, -v22
	v_fma_f32 v1, v1, 2.0, -v23
	;; [unrolled: 1-line block ×10, first 2 shown]
	s_barrier
	ds_write2_b64 v81, v[0:1], v[22:23] offset1:17
	ds_write2_b64 v82, v[2:3], v[24:25] offset1:17
	;; [unrolled: 1-line block ×5, first 2 shown]
	s_waitcnt lgkmcnt(0)
	s_barrier
	ds_read2_b64 v[0:3], v80 offset1:34
	ds_read2_b64 v[20:23], v80 offset0:68 offset1:102
	ds_read2_b64 v[24:27], v80 offset0:136 offset1:170
	;; [unrolled: 1-line block ×4, first 2 shown]
	s_waitcnt lgkmcnt(4)
	v_mul_f32_e32 v36, v17, v3
	v_fmac_f32_e32 v36, v16, v2
	v_mul_f32_e32 v2, v17, v2
	s_waitcnt lgkmcnt(3)
	v_mul_f32_e32 v17, v13, v23
	v_mul_f32_e32 v13, v13, v22
	v_fmac_f32_e32 v17, v12, v22
	v_fma_f32 v12, v12, v23, -v13
	s_waitcnt lgkmcnt(2)
	v_mul_f32_e32 v13, v15, v25
	v_mul_f32_e32 v15, v15, v24
	v_fmac_f32_e32 v13, v14, v24
	v_fma_f32 v14, v14, v25, -v15
	v_mul_f32_e32 v15, v9, v27
	v_mul_f32_e32 v9, v9, v26
	v_fmac_f32_e32 v15, v8, v26
	v_fma_f32 v8, v8, v27, -v9
	s_waitcnt lgkmcnt(1)
	v_mul_f32_e32 v9, v11, v29
	v_mul_f32_e32 v11, v11, v28
	v_fma_f32 v16, v16, v3, -v2
	v_mul_f32_e32 v2, v19, v21
	v_fmac_f32_e32 v9, v10, v28
	v_fma_f32 v10, v10, v29, -v11
	v_mul_f32_e32 v11, v5, v31
	v_mul_f32_e32 v5, v5, v30
	v_fmac_f32_e32 v2, v18, v20
	v_mul_f32_e32 v3, v19, v20
	v_fmac_f32_e32 v11, v4, v30
	v_fma_f32 v4, v4, v31, -v5
	s_waitcnt lgkmcnt(0)
	v_mul_f32_e32 v5, v7, v33
	v_mul_f32_e32 v7, v7, v32
	v_add_f32_e32 v20, v13, v9
	v_fma_f32 v3, v18, v21, -v3
	v_fmac_f32_e32 v5, v6, v32
	v_fma_f32 v6, v6, v33, -v7
	v_fma_f32 v20, -0.5, v20, v0
	v_sub_f32_e32 v21, v3, v6
	v_mov_b32_e32 v22, v20
	v_fmac_f32_e32 v22, 0xbf737871, v21
	v_sub_f32_e32 v23, v14, v10
	v_sub_f32_e32 v24, v2, v13
	;; [unrolled: 1-line block ×3, first 2 shown]
	v_fmac_f32_e32 v20, 0x3f737871, v21
	v_fmac_f32_e32 v22, 0xbf167918, v23
	v_add_f32_e32 v24, v24, v25
	v_fmac_f32_e32 v20, 0x3f167918, v23
	v_fmac_f32_e32 v22, 0x3e9e377a, v24
	;; [unrolled: 1-line block ×3, first 2 shown]
	v_add_f32_e32 v24, v2, v5
	v_fma_f32 v24, -0.5, v24, v0
	v_mov_b32_e32 v25, v24
	v_add_f32_e32 v19, v0, v2
	v_fmac_f32_e32 v25, 0x3f737871, v23
	v_sub_f32_e32 v0, v13, v2
	v_sub_f32_e32 v26, v9, v5
	v_fmac_f32_e32 v24, 0xbf737871, v23
	v_fmac_f32_e32 v25, 0xbf167918, v21
	v_add_f32_e32 v0, v0, v26
	v_fmac_f32_e32 v24, 0x3f167918, v21
	v_fmac_f32_e32 v25, 0x3e9e377a, v0
	;; [unrolled: 1-line block ×3, first 2 shown]
	v_add_f32_e32 v0, v1, v3
	v_add_f32_e32 v0, v0, v14
	;; [unrolled: 1-line block ×6, first 2 shown]
	v_fma_f32 v23, -0.5, v0, v1
	v_add_f32_e32 v19, v19, v9
	v_sub_f32_e32 v0, v2, v5
	v_mov_b32_e32 v26, v23
	v_add_f32_e32 v19, v19, v5
	v_fmac_f32_e32 v26, 0x3f737871, v0
	v_sub_f32_e32 v2, v13, v9
	v_sub_f32_e32 v5, v3, v14
	;; [unrolled: 1-line block ×3, first 2 shown]
	v_fmac_f32_e32 v23, 0xbf737871, v0
	v_fmac_f32_e32 v26, 0x3f167918, v2
	v_add_f32_e32 v5, v5, v9
	v_fmac_f32_e32 v23, 0xbf167918, v2
	v_fmac_f32_e32 v26, 0x3e9e377a, v5
	;; [unrolled: 1-line block ×3, first 2 shown]
	v_add_f32_e32 v5, v3, v6
	v_fma_f32 v27, -0.5, v5, v1
	v_mov_b32_e32 v28, v27
	v_fmac_f32_e32 v28, 0xbf737871, v2
	v_fmac_f32_e32 v27, 0x3f737871, v2
	;; [unrolled: 1-line block ×4, first 2 shown]
	v_add_f32_e32 v0, v36, v17
	v_mul_f32_e32 v7, v60, v35
	v_add_f32_e32 v0, v0, v15
	v_fmac_f32_e32 v7, v59, v34
	v_add_f32_e32 v0, v0, v11
	v_mul_f32_e32 v18, v60, v34
	v_sub_f32_e32 v1, v14, v3
	v_sub_f32_e32 v3, v10, v6
	v_add_f32_e32 v10, v0, v7
	v_add_f32_e32 v0, v15, v11
	v_fma_f32 v18, v59, v35, -v18
	v_fma_f32 v9, -0.5, v0, v36
	v_add_f32_e32 v1, v1, v3
	v_sub_f32_e32 v0, v12, v18
	v_mov_b32_e32 v3, v9
	v_fmac_f32_e32 v28, 0x3e9e377a, v1
	v_fmac_f32_e32 v27, 0x3e9e377a, v1
	;; [unrolled: 1-line block ×3, first 2 shown]
	v_sub_f32_e32 v1, v8, v4
	v_sub_f32_e32 v2, v17, v15
	;; [unrolled: 1-line block ×3, first 2 shown]
	v_fmac_f32_e32 v9, 0x3f737871, v0
	v_fmac_f32_e32 v3, 0xbf167918, v1
	v_add_f32_e32 v2, v2, v5
	v_fmac_f32_e32 v9, 0x3f167918, v1
	v_fmac_f32_e32 v3, 0x3e9e377a, v2
	;; [unrolled: 1-line block ×3, first 2 shown]
	v_add_f32_e32 v2, v17, v7
	v_fmac_f32_e32 v36, -0.5, v2
	v_mov_b32_e32 v5, v36
	v_fmac_f32_e32 v5, 0x3f737871, v1
	v_fmac_f32_e32 v36, 0xbf737871, v1
	;; [unrolled: 1-line block ×4, first 2 shown]
	v_add_f32_e32 v0, v16, v12
	v_add_f32_e32 v0, v0, v8
	;; [unrolled: 1-line block ×5, first 2 shown]
	v_sub_f32_e32 v2, v15, v17
	v_sub_f32_e32 v6, v11, v7
	v_fma_f32 v14, -0.5, v0, v16
	v_add_f32_e32 v2, v2, v6
	v_sub_f32_e32 v0, v17, v7
	v_mov_b32_e32 v7, v14
	v_fmac_f32_e32 v5, 0x3e9e377a, v2
	v_fmac_f32_e32 v36, 0x3e9e377a, v2
	;; [unrolled: 1-line block ×3, first 2 shown]
	v_sub_f32_e32 v1, v15, v11
	v_sub_f32_e32 v2, v12, v8
	;; [unrolled: 1-line block ×3, first 2 shown]
	v_fmac_f32_e32 v14, 0xbf737871, v0
	v_fmac_f32_e32 v7, 0x3f167918, v1
	v_add_f32_e32 v2, v2, v6
	v_fmac_f32_e32 v14, 0xbf167918, v1
	v_fmac_f32_e32 v7, 0x3e9e377a, v2
	;; [unrolled: 1-line block ×3, first 2 shown]
	v_add_f32_e32 v2, v12, v18
	v_fmac_f32_e32 v16, -0.5, v2
	v_mov_b32_e32 v11, v16
	v_fmac_f32_e32 v11, 0xbf737871, v1
	v_sub_f32_e32 v2, v8, v12
	v_sub_f32_e32 v4, v4, v18
	v_fmac_f32_e32 v16, 0x3f737871, v1
	v_fmac_f32_e32 v11, 0x3f167918, v0
	v_add_f32_e32 v2, v2, v4
	v_fmac_f32_e32 v16, 0xbf167918, v0
	v_fmac_f32_e32 v11, 0x3e9e377a, v2
	;; [unrolled: 1-line block ×3, first 2 shown]
	v_mul_f32_e32 v12, 0xbf167918, v7
	v_mul_f32_e32 v15, 0xbf737871, v11
	;; [unrolled: 1-line block ×8, first 2 shown]
	v_add_f32_e32 v0, v19, v10
	v_fmac_f32_e32 v12, 0x3f4f1bbd, v3
	v_fmac_f32_e32 v15, 0x3e9e377a, v5
	;; [unrolled: 1-line block ×4, first 2 shown]
	v_add_f32_e32 v1, v21, v13
	v_fmac_f32_e32 v29, 0x3f167918, v3
	v_fmac_f32_e32 v30, 0x3f737871, v5
	;; [unrolled: 1-line block ×4, first 2 shown]
	v_add_f32_e32 v2, v22, v12
	v_add_f32_e32 v4, v25, v15
	;; [unrolled: 1-line block ×8, first 2 shown]
	v_sub_f32_e32 v10, v19, v10
	v_sub_f32_e32 v12, v22, v12
	;; [unrolled: 1-line block ×8, first 2 shown]
	ds_write_b64 v86, v[0:1]
	ds_write2_b64 v79, v[2:3], v[4:5] offset0:34 offset1:68
	ds_write2_b64 v79, v[6:7], v[8:9] offset0:102 offset1:136
	;; [unrolled: 1-line block ×3, first 2 shown]
	v_add_u32_e32 v0, 0x400, v79
	v_sub_f32_e32 v18, v20, v18
	v_sub_f32_e32 v19, v23, v32
	ds_write2_b64 v0, v[14:15], v[16:17] offset0:110 offset1:144
	ds_write_b64 v79, v[18:19] offset:2448
	s_waitcnt lgkmcnt(0)
	s_barrier
	s_and_b64 exec, exec, vcc
	s_cbranch_execz .LBB0_15
; %bb.14:
	global_load_dwordx2 v[0:1], v76, s[12:13]
	ds_read_b64 v[4:5], v86
	v_mad_u64_u32 v[2:3], s[0:1], s6, v40, 0
	v_mad_u64_u32 v[6:7], s[0:1], s4, v75, 0
	s_waitcnt lgkmcnt(0)
	v_mad_u64_u32 v[8:9], s[2:3], s7, v40, v[3:4]
	s_mov_b32 s0, 0x18181818
	s_mov_b32 s1, 0x3f681818
	v_mad_u64_u32 v[9:10], s[2:3], s5, v75, v[7:8]
	v_mov_b32_e32 v11, s15
	s_mul_i32 s3, s5, 0xa0
	v_mov_b32_e32 v7, v9
	v_lshlrev_b64 v[6:7], 3, v[6:7]
	s_mul_hi_u32 s6, s4, 0xa0
	s_mul_i32 s2, s4, 0xa0
	s_add_i32 s3, s6, s3
	s_waitcnt vmcnt(0)
	v_mul_f32_e32 v3, v5, v1
	v_mul_f32_e32 v1, v4, v1
	v_fmac_f32_e32 v3, v4, v0
	v_fma_f32 v4, v0, v5, -v1
	v_cvt_f64_f32_e32 v[0:1], v3
	v_cvt_f64_f32_e32 v[4:5], v4
	v_mov_b32_e32 v3, v8
	v_lshlrev_b64 v[2:3], 3, v[2:3]
	v_mul_f64 v[0:1], v[0:1], s[0:1]
	v_mul_f64 v[4:5], v[4:5], s[0:1]
	v_add_co_u32_e32 v9, vcc, s14, v2
	v_addc_co_u32_e32 v10, vcc, v11, v3, vcc
	v_cvt_f32_f64_e32 v0, v[0:1]
	v_cvt_f32_f64_e32 v1, v[4:5]
	v_add_co_u32_e32 v4, vcc, v9, v6
	v_addc_co_u32_e32 v5, vcc, v10, v7, vcc
	global_store_dwordx2 v[4:5], v[0:1], off
	global_load_dwordx2 v[6:7], v76, s[12:13] offset:160
	ds_read2_b64 v[0:3], v79 offset0:20 offset1:40
	v_add_co_u32_e32 v4, vcc, s2, v4
	s_waitcnt vmcnt(0) lgkmcnt(0)
	v_mul_f32_e32 v8, v1, v7
	v_mul_f32_e32 v7, v0, v7
	v_fmac_f32_e32 v8, v0, v6
	v_fma_f32 v6, v6, v1, -v7
	v_cvt_f64_f32_e32 v[0:1], v8
	v_cvt_f64_f32_e32 v[6:7], v6
	v_mov_b32_e32 v8, s3
	v_addc_co_u32_e32 v5, vcc, v5, v8, vcc
	v_mul_f64 v[0:1], v[0:1], s[0:1]
	v_mul_f64 v[6:7], v[6:7], s[0:1]
	v_cvt_f32_f64_e32 v0, v[0:1]
	v_cvt_f32_f64_e32 v1, v[6:7]
	global_store_dwordx2 v[4:5], v[0:1], off
	global_load_dwordx2 v[0:1], v76, s[12:13] offset:320
	v_add_co_u32_e32 v4, vcc, s2, v4
	s_waitcnt vmcnt(0)
	v_mul_f32_e32 v6, v3, v1
	v_mul_f32_e32 v1, v2, v1
	v_fmac_f32_e32 v6, v2, v0
	v_fma_f32 v2, v0, v3, -v1
	v_cvt_f64_f32_e32 v[0:1], v6
	v_cvt_f64_f32_e32 v[2:3], v2
	v_mov_b32_e32 v6, s3
	v_addc_co_u32_e32 v5, vcc, v5, v6, vcc
	v_mul_f64 v[0:1], v[0:1], s[0:1]
	v_mul_f64 v[2:3], v[2:3], s[0:1]
	v_cvt_f32_f64_e32 v0, v[0:1]
	v_cvt_f32_f64_e32 v1, v[2:3]
	global_store_dwordx2 v[4:5], v[0:1], off
	global_load_dwordx2 v[6:7], v76, s[12:13] offset:480
	ds_read2_b64 v[0:3], v79 offset0:60 offset1:80
	v_add_co_u32_e32 v4, vcc, s2, v4
	s_waitcnt vmcnt(0) lgkmcnt(0)
	v_mul_f32_e32 v8, v1, v7
	v_mul_f32_e32 v7, v0, v7
	v_fmac_f32_e32 v8, v0, v6
	v_fma_f32 v6, v6, v1, -v7
	v_cvt_f64_f32_e32 v[0:1], v8
	v_cvt_f64_f32_e32 v[6:7], v6
	v_mov_b32_e32 v8, s3
	v_addc_co_u32_e32 v5, vcc, v5, v8, vcc
	v_mul_f64 v[0:1], v[0:1], s[0:1]
	v_mul_f64 v[6:7], v[6:7], s[0:1]
	v_cvt_f32_f64_e32 v0, v[0:1]
	v_cvt_f32_f64_e32 v1, v[6:7]
	global_store_dwordx2 v[4:5], v[0:1], off
	global_load_dwordx2 v[0:1], v76, s[12:13] offset:640
	v_add_co_u32_e32 v4, vcc, s2, v4
	s_waitcnt vmcnt(0)
	v_mul_f32_e32 v6, v3, v1
	v_mul_f32_e32 v1, v2, v1
	v_fmac_f32_e32 v6, v2, v0
	v_fma_f32 v2, v0, v3, -v1
	v_cvt_f64_f32_e32 v[0:1], v6
	v_cvt_f64_f32_e32 v[2:3], v2
	v_mov_b32_e32 v6, s3
	v_addc_co_u32_e32 v5, vcc, v5, v6, vcc
	v_mul_f64 v[0:1], v[0:1], s[0:1]
	v_mul_f64 v[2:3], v[2:3], s[0:1]
	v_cvt_f32_f64_e32 v0, v[0:1]
	v_cvt_f32_f64_e32 v1, v[2:3]
	;; [unrolled: 33-line block ×3, first 2 shown]
	global_store_dwordx2 v[4:5], v[0:1], off
	global_load_dwordx2 v[6:7], v76, s[12:13] offset:1120
	ds_read2_b64 v[0:3], v79 offset0:140 offset1:160
	v_add_co_u32_e32 v4, vcc, s2, v4
	s_waitcnt vmcnt(0) lgkmcnt(0)
	v_mul_f32_e32 v8, v1, v7
	v_mul_f32_e32 v7, v0, v7
	v_fmac_f32_e32 v8, v0, v6
	v_fma_f32 v6, v6, v1, -v7
	v_cvt_f64_f32_e32 v[0:1], v8
	v_cvt_f64_f32_e32 v[6:7], v6
	v_mov_b32_e32 v8, s3
	v_addc_co_u32_e32 v5, vcc, v5, v8, vcc
	v_mul_f64 v[0:1], v[0:1], s[0:1]
	v_mul_f64 v[6:7], v[6:7], s[0:1]
	v_or_b32_e32 v8, 0xa0, v75
	v_cvt_f32_f64_e32 v0, v[0:1]
	v_cvt_f32_f64_e32 v1, v[6:7]
	v_mad_u64_u32 v[6:7], s[6:7], s4, v8, 0
	global_store_dwordx2 v[4:5], v[0:1], off
	global_load_dwordx2 v[0:1], v76, s[12:13] offset:1280
	v_mad_u64_u32 v[7:8], s[6:7], s5, v8, v[7:8]
	v_lshlrev_b64 v[6:7], 3, v[6:7]
	s_waitcnt vmcnt(0)
	v_mul_f32_e32 v11, v3, v1
	v_mul_f32_e32 v1, v2, v1
	v_fmac_f32_e32 v11, v2, v0
	v_fma_f32 v2, v0, v3, -v1
	v_cvt_f64_f32_e32 v[0:1], v11
	v_cvt_f64_f32_e32 v[2:3], v2
	v_mul_f64 v[0:1], v[0:1], s[0:1]
	v_mul_f64 v[2:3], v[2:3], s[0:1]
	v_cvt_f32_f64_e32 v0, v[0:1]
	v_cvt_f32_f64_e32 v1, v[2:3]
	v_add_co_u32_e32 v2, vcc, v9, v6
	v_addc_co_u32_e32 v3, vcc, v10, v7, vcc
	global_store_dwordx2 v[2:3], v[0:1], off
	global_load_dwordx2 v[6:7], v76, s[12:13] offset:1440
	ds_read2_b64 v[0:3], v79 offset0:180 offset1:200
	s_waitcnt vmcnt(0) lgkmcnt(0)
	v_mul_f32_e32 v8, v1, v7
	v_mul_f32_e32 v7, v0, v7
	v_fmac_f32_e32 v8, v0, v6
	v_fma_f32 v6, v6, v1, -v7
	v_cvt_f64_f32_e32 v[0:1], v8
	v_cvt_f64_f32_e32 v[6:7], v6
	v_mov_b32_e32 v8, 0x140
	v_mad_u64_u32 v[4:5], s[6:7], s4, v8, v[4:5]
	v_mul_f64 v[0:1], v[0:1], s[0:1]
	v_mul_f64 v[6:7], v[6:7], s[0:1]
	s_mul_i32 s6, s5, 0x140
	v_add_u32_e32 v5, s6, v5
	v_cvt_f32_f64_e32 v0, v[0:1]
	v_cvt_f32_f64_e32 v1, v[6:7]
	global_store_dwordx2 v[4:5], v[0:1], off
	global_load_dwordx2 v[0:1], v76, s[12:13] offset:1600
	v_add_co_u32_e32 v4, vcc, s2, v4
	s_waitcnt vmcnt(0)
	v_mul_f32_e32 v6, v3, v1
	v_mul_f32_e32 v1, v2, v1
	v_fmac_f32_e32 v6, v2, v0
	v_fma_f32 v2, v0, v3, -v1
	v_cvt_f64_f32_e32 v[0:1], v6
	v_cvt_f64_f32_e32 v[2:3], v2
	v_mov_b32_e32 v6, s3
	v_addc_co_u32_e32 v5, vcc, v5, v6, vcc
	v_mul_f64 v[0:1], v[0:1], s[0:1]
	v_mul_f64 v[2:3], v[2:3], s[0:1]
	v_cvt_f32_f64_e32 v0, v[0:1]
	v_cvt_f32_f64_e32 v1, v[2:3]
	global_store_dwordx2 v[4:5], v[0:1], off
	global_load_dwordx2 v[6:7], v76, s[12:13] offset:1760
	ds_read2_b64 v[0:3], v79 offset0:220 offset1:240
	v_add_co_u32_e32 v4, vcc, s2, v4
	s_waitcnt vmcnt(0) lgkmcnt(0)
	v_mul_f32_e32 v8, v1, v7
	v_mul_f32_e32 v7, v0, v7
	v_fmac_f32_e32 v8, v0, v6
	v_fma_f32 v6, v6, v1, -v7
	v_cvt_f64_f32_e32 v[0:1], v8
	v_cvt_f64_f32_e32 v[6:7], v6
	v_mov_b32_e32 v8, s3
	v_addc_co_u32_e32 v5, vcc, v5, v8, vcc
	v_mul_f64 v[0:1], v[0:1], s[0:1]
	v_mul_f64 v[6:7], v[6:7], s[0:1]
	v_add_u32_e32 v8, 0x800, v79
	v_cvt_f32_f64_e32 v0, v[0:1]
	v_cvt_f32_f64_e32 v1, v[6:7]
	global_store_dwordx2 v[4:5], v[0:1], off
	global_load_dwordx2 v[0:1], v76, s[12:13] offset:1920
	v_add_co_u32_e32 v4, vcc, s2, v4
	s_waitcnt vmcnt(0)
	v_mul_f32_e32 v6, v3, v1
	v_mul_f32_e32 v1, v2, v1
	v_fmac_f32_e32 v6, v2, v0
	v_fma_f32 v2, v0, v3, -v1
	v_cvt_f64_f32_e32 v[0:1], v6
	v_cvt_f64_f32_e32 v[2:3], v2
	v_mov_b32_e32 v6, s3
	v_addc_co_u32_e32 v5, vcc, v5, v6, vcc
	v_mul_f64 v[0:1], v[0:1], s[0:1]
	v_mul_f64 v[2:3], v[2:3], s[0:1]
	v_cvt_f32_f64_e32 v0, v[0:1]
	v_cvt_f32_f64_e32 v1, v[2:3]
	global_store_dwordx2 v[4:5], v[0:1], off
	global_load_dwordx2 v[6:7], v76, s[12:13] offset:2080
	ds_read2_b64 v[0:3], v8 offset0:4 offset1:24
	v_add_co_u32_e32 v4, vcc, s2, v4
	s_waitcnt vmcnt(0) lgkmcnt(0)
	v_mul_f32_e32 v11, v1, v7
	v_mul_f32_e32 v7, v0, v7
	v_fmac_f32_e32 v11, v0, v6
	v_fma_f32 v6, v6, v1, -v7
	v_cvt_f64_f32_e32 v[0:1], v11
	v_cvt_f64_f32_e32 v[6:7], v6
	v_mov_b32_e32 v11, s3
	v_addc_co_u32_e32 v5, vcc, v5, v11, vcc
	v_mul_f64 v[0:1], v[0:1], s[0:1]
	v_mul_f64 v[6:7], v[6:7], s[0:1]
	v_cvt_f32_f64_e32 v0, v[0:1]
	v_cvt_f32_f64_e32 v1, v[6:7]
	global_store_dwordx2 v[4:5], v[0:1], off
	global_load_dwordx2 v[0:1], v76, s[12:13] offset:2240
	v_add_co_u32_e32 v4, vcc, s2, v4
	s_waitcnt vmcnt(0)
	v_mul_f32_e32 v6, v3, v1
	v_mul_f32_e32 v1, v2, v1
	v_fmac_f32_e32 v6, v2, v0
	v_fma_f32 v2, v0, v3, -v1
	v_cvt_f64_f32_e32 v[0:1], v6
	v_cvt_f64_f32_e32 v[2:3], v2
	v_mov_b32_e32 v6, s3
	v_addc_co_u32_e32 v5, vcc, v5, v6, vcc
	v_mul_f64 v[0:1], v[0:1], s[0:1]
	v_mul_f64 v[2:3], v[2:3], s[0:1]
	v_cvt_f32_f64_e32 v0, v[0:1]
	v_cvt_f32_f64_e32 v1, v[2:3]
	global_store_dwordx2 v[4:5], v[0:1], off
	global_load_dwordx2 v[6:7], v76, s[12:13] offset:2400
	ds_read2_b64 v[0:3], v8 offset0:44 offset1:64
	v_add_co_u32_e32 v4, vcc, s2, v4
	s_waitcnt vmcnt(0) lgkmcnt(0)
	v_mul_f32_e32 v8, v1, v7
	v_mul_f32_e32 v7, v0, v7
	v_fmac_f32_e32 v8, v0, v6
	v_fma_f32 v6, v6, v1, -v7
	v_cvt_f64_f32_e32 v[0:1], v8
	v_cvt_f64_f32_e32 v[6:7], v6
	v_mov_b32_e32 v8, s3
	v_addc_co_u32_e32 v5, vcc, v5, v8, vcc
	v_mul_f64 v[0:1], v[0:1], s[0:1]
	v_mul_f64 v[6:7], v[6:7], s[0:1]
	v_cvt_f32_f64_e32 v0, v[0:1]
	v_cvt_f32_f64_e32 v1, v[6:7]
	v_or_b32_e32 v6, 0x140, v75
	global_store_dwordx2 v[4:5], v[0:1], off
	global_load_dwordx2 v[0:1], v76, s[12:13] offset:2560
	v_mad_u64_u32 v[4:5], s[2:3], s4, v6, 0
	s_waitcnt vmcnt(0)
	v_mul_f32_e32 v7, v3, v1
	v_mul_f32_e32 v1, v2, v1
	v_fmac_f32_e32 v7, v2, v0
	v_fma_f32 v2, v0, v3, -v1
	v_cvt_f64_f32_e32 v[0:1], v7
	v_cvt_f64_f32_e32 v[2:3], v2
	v_mul_f64 v[0:1], v[0:1], s[0:1]
	v_mul_f64 v[2:3], v[2:3], s[0:1]
	v_mad_u64_u32 v[5:6], s[0:1], s5, v6, v[5:6]
	v_lshlrev_b64 v[4:5], 3, v[4:5]
	v_cvt_f32_f64_e32 v0, v[0:1]
	v_cvt_f32_f64_e32 v1, v[2:3]
	v_add_co_u32_e32 v2, vcc, v9, v4
	v_addc_co_u32_e32 v3, vcc, v10, v5, vcc
	global_store_dwordx2 v[2:3], v[0:1], off
.LBB0_15:
	s_endpgm
	.section	.rodata,"a",@progbits
	.p2align	6, 0x0
	.amdhsa_kernel bluestein_single_fwd_len340_dim1_sp_op_CI_CI
		.amdhsa_group_segment_fixed_size 8160
		.amdhsa_private_segment_fixed_size 0
		.amdhsa_kernarg_size 104
		.amdhsa_user_sgpr_count 6
		.amdhsa_user_sgpr_private_segment_buffer 1
		.amdhsa_user_sgpr_dispatch_ptr 0
		.amdhsa_user_sgpr_queue_ptr 0
		.amdhsa_user_sgpr_kernarg_segment_ptr 1
		.amdhsa_user_sgpr_dispatch_id 0
		.amdhsa_user_sgpr_flat_scratch_init 0
		.amdhsa_user_sgpr_private_segment_size 0
		.amdhsa_uses_dynamic_stack 0
		.amdhsa_system_sgpr_private_segment_wavefront_offset 0
		.amdhsa_system_sgpr_workgroup_id_x 1
		.amdhsa_system_sgpr_workgroup_id_y 0
		.amdhsa_system_sgpr_workgroup_id_z 0
		.amdhsa_system_sgpr_workgroup_info 0
		.amdhsa_system_vgpr_workitem_id 0
		.amdhsa_next_free_vgpr 256
		.amdhsa_next_free_sgpr 18
		.amdhsa_reserve_vcc 1
		.amdhsa_reserve_flat_scratch 0
		.amdhsa_float_round_mode_32 0
		.amdhsa_float_round_mode_16_64 0
		.amdhsa_float_denorm_mode_32 3
		.amdhsa_float_denorm_mode_16_64 3
		.amdhsa_dx10_clamp 1
		.amdhsa_ieee_mode 1
		.amdhsa_fp16_overflow 0
		.amdhsa_exception_fp_ieee_invalid_op 0
		.amdhsa_exception_fp_denorm_src 0
		.amdhsa_exception_fp_ieee_div_zero 0
		.amdhsa_exception_fp_ieee_overflow 0
		.amdhsa_exception_fp_ieee_underflow 0
		.amdhsa_exception_fp_ieee_inexact 0
		.amdhsa_exception_int_div_zero 0
	.end_amdhsa_kernel
	.text
.Lfunc_end0:
	.size	bluestein_single_fwd_len340_dim1_sp_op_CI_CI, .Lfunc_end0-bluestein_single_fwd_len340_dim1_sp_op_CI_CI
                                        ; -- End function
	.section	.AMDGPU.csdata,"",@progbits
; Kernel info:
; codeLenInByte = 17948
; NumSgprs: 22
; NumVgprs: 256
; ScratchSize: 0
; MemoryBound: 0
; FloatMode: 240
; IeeeMode: 1
; LDSByteSize: 8160 bytes/workgroup (compile time only)
; SGPRBlocks: 2
; VGPRBlocks: 63
; NumSGPRsForWavesPerEU: 22
; NumVGPRsForWavesPerEU: 256
; Occupancy: 1
; WaveLimiterHint : 1
; COMPUTE_PGM_RSRC2:SCRATCH_EN: 0
; COMPUTE_PGM_RSRC2:USER_SGPR: 6
; COMPUTE_PGM_RSRC2:TRAP_HANDLER: 0
; COMPUTE_PGM_RSRC2:TGID_X_EN: 1
; COMPUTE_PGM_RSRC2:TGID_Y_EN: 0
; COMPUTE_PGM_RSRC2:TGID_Z_EN: 0
; COMPUTE_PGM_RSRC2:TIDIG_COMP_CNT: 0
	.type	__hip_cuid_8c86f396bb7b4db3,@object ; @__hip_cuid_8c86f396bb7b4db3
	.section	.bss,"aw",@nobits
	.globl	__hip_cuid_8c86f396bb7b4db3
__hip_cuid_8c86f396bb7b4db3:
	.byte	0                               ; 0x0
	.size	__hip_cuid_8c86f396bb7b4db3, 1

	.ident	"AMD clang version 19.0.0git (https://github.com/RadeonOpenCompute/llvm-project roc-6.4.0 25133 c7fe45cf4b819c5991fe208aaa96edf142730f1d)"
	.section	".note.GNU-stack","",@progbits
	.addrsig
	.addrsig_sym __hip_cuid_8c86f396bb7b4db3
	.amdgpu_metadata
---
amdhsa.kernels:
  - .args:
      - .actual_access:  read_only
        .address_space:  global
        .offset:         0
        .size:           8
        .value_kind:     global_buffer
      - .actual_access:  read_only
        .address_space:  global
        .offset:         8
        .size:           8
        .value_kind:     global_buffer
      - .actual_access:  read_only
        .address_space:  global
        .offset:         16
        .size:           8
        .value_kind:     global_buffer
      - .actual_access:  read_only
        .address_space:  global
        .offset:         24
        .size:           8
        .value_kind:     global_buffer
      - .actual_access:  read_only
        .address_space:  global
        .offset:         32
        .size:           8
        .value_kind:     global_buffer
      - .offset:         40
        .size:           8
        .value_kind:     by_value
      - .address_space:  global
        .offset:         48
        .size:           8
        .value_kind:     global_buffer
      - .address_space:  global
        .offset:         56
        .size:           8
        .value_kind:     global_buffer
      - .address_space:  global
        .offset:         64
        .size:           8
        .value_kind:     global_buffer
      - .address_space:  global
        .offset:         72
        .size:           8
        .value_kind:     global_buffer
      - .offset:         80
        .size:           4
        .value_kind:     by_value
      - .address_space:  global
        .offset:         88
        .size:           8
        .value_kind:     global_buffer
      - .address_space:  global
        .offset:         96
        .size:           8
        .value_kind:     global_buffer
    .group_segment_fixed_size: 8160
    .kernarg_segment_align: 8
    .kernarg_segment_size: 104
    .language:       OpenCL C
    .language_version:
      - 2
      - 0
    .max_flat_workgroup_size: 102
    .name:           bluestein_single_fwd_len340_dim1_sp_op_CI_CI
    .private_segment_fixed_size: 0
    .sgpr_count:     22
    .sgpr_spill_count: 0
    .symbol:         bluestein_single_fwd_len340_dim1_sp_op_CI_CI.kd
    .uniform_work_group_size: 1
    .uses_dynamic_stack: false
    .vgpr_count:     256
    .vgpr_spill_count: 0
    .wavefront_size: 64
amdhsa.target:   amdgcn-amd-amdhsa--gfx906
amdhsa.version:
  - 1
  - 2
...

	.end_amdgpu_metadata
